;; amdgpu-corpus repo=ROCm/rocFFT kind=compiled arch=gfx1030 opt=O3
	.text
	.amdgcn_target "amdgcn-amd-amdhsa--gfx1030"
	.amdhsa_code_object_version 6
	.protected	fft_rtc_back_len2880_factors_10_6_6_2_2_2_wgs_96_tpt_96_halfLds_half_op_CI_CI_unitstride_sbrr_C2R_dirReg ; -- Begin function fft_rtc_back_len2880_factors_10_6_6_2_2_2_wgs_96_tpt_96_halfLds_half_op_CI_CI_unitstride_sbrr_C2R_dirReg
	.globl	fft_rtc_back_len2880_factors_10_6_6_2_2_2_wgs_96_tpt_96_halfLds_half_op_CI_CI_unitstride_sbrr_C2R_dirReg
	.p2align	8
	.type	fft_rtc_back_len2880_factors_10_6_6_2_2_2_wgs_96_tpt_96_halfLds_half_op_CI_CI_unitstride_sbrr_C2R_dirReg,@function
fft_rtc_back_len2880_factors_10_6_6_2_2_2_wgs_96_tpt_96_halfLds_half_op_CI_CI_unitstride_sbrr_C2R_dirReg: ; @fft_rtc_back_len2880_factors_10_6_6_2_2_2_wgs_96_tpt_96_halfLds_half_op_CI_CI_unitstride_sbrr_C2R_dirReg
; %bb.0:
	s_clause 0x2
	s_load_dwordx4 s[12:15], s[4:5], 0x0
	s_load_dwordx4 s[8:11], s[4:5], 0x58
	;; [unrolled: 1-line block ×3, first 2 shown]
	v_mul_u32_u24_e32 v1, 0x2ab, v0
	v_mov_b32_e32 v3, 0
	v_add_nc_u32_sdwa v5, s6, v1 dst_sel:DWORD dst_unused:UNUSED_PAD src0_sel:DWORD src1_sel:WORD_1
	v_mov_b32_e32 v1, 0
	v_mov_b32_e32 v6, v3
	v_mov_b32_e32 v2, 0
	s_waitcnt lgkmcnt(0)
	v_cmp_lt_u64_e64 s0, s[14:15], 2
	s_and_b32 vcc_lo, exec_lo, s0
	s_cbranch_vccnz .LBB0_8
; %bb.1:
	s_load_dwordx2 s[0:1], s[4:5], 0x10
	v_mov_b32_e32 v1, 0
	v_mov_b32_e32 v2, 0
	s_add_u32 s2, s18, 8
	s_addc_u32 s3, s19, 0
	s_add_u32 s6, s16, 8
	s_addc_u32 s7, s17, 0
	v_mov_b32_e32 v23, v2
	v_mov_b32_e32 v22, v1
	s_mov_b64 s[22:23], 1
	s_waitcnt lgkmcnt(0)
	s_add_u32 s20, s0, 8
	s_addc_u32 s21, s1, 0
.LBB0_2:                                ; =>This Inner Loop Header: Depth=1
	s_load_dwordx2 s[24:25], s[20:21], 0x0
                                        ; implicit-def: $vgpr24_vgpr25
	s_mov_b32 s0, exec_lo
	s_waitcnt lgkmcnt(0)
	v_or_b32_e32 v4, s25, v6
	v_cmpx_ne_u64_e32 0, v[3:4]
	s_xor_b32 s1, exec_lo, s0
	s_cbranch_execz .LBB0_4
; %bb.3:                                ;   in Loop: Header=BB0_2 Depth=1
	v_cvt_f32_u32_e32 v4, s24
	v_cvt_f32_u32_e32 v7, s25
	s_sub_u32 s0, 0, s24
	s_subb_u32 s26, 0, s25
	v_fmac_f32_e32 v4, 0x4f800000, v7
	v_rcp_f32_e32 v4, v4
	v_mul_f32_e32 v4, 0x5f7ffffc, v4
	v_mul_f32_e32 v7, 0x2f800000, v4
	v_trunc_f32_e32 v7, v7
	v_fmac_f32_e32 v4, 0xcf800000, v7
	v_cvt_u32_f32_e32 v7, v7
	v_cvt_u32_f32_e32 v4, v4
	v_mul_lo_u32 v8, s0, v7
	v_mul_hi_u32 v9, s0, v4
	v_mul_lo_u32 v10, s26, v4
	v_add_nc_u32_e32 v8, v9, v8
	v_mul_lo_u32 v9, s0, v4
	v_add_nc_u32_e32 v8, v8, v10
	v_mul_hi_u32 v10, v4, v9
	v_mul_lo_u32 v11, v4, v8
	v_mul_hi_u32 v12, v4, v8
	v_mul_hi_u32 v13, v7, v9
	v_mul_lo_u32 v9, v7, v9
	v_mul_hi_u32 v14, v7, v8
	v_mul_lo_u32 v8, v7, v8
	v_add_co_u32 v10, vcc_lo, v10, v11
	v_add_co_ci_u32_e32 v11, vcc_lo, 0, v12, vcc_lo
	v_add_co_u32 v9, vcc_lo, v10, v9
	v_add_co_ci_u32_e32 v9, vcc_lo, v11, v13, vcc_lo
	v_add_co_ci_u32_e32 v10, vcc_lo, 0, v14, vcc_lo
	v_add_co_u32 v8, vcc_lo, v9, v8
	v_add_co_ci_u32_e32 v9, vcc_lo, 0, v10, vcc_lo
	v_add_co_u32 v4, vcc_lo, v4, v8
	v_add_co_ci_u32_e32 v7, vcc_lo, v7, v9, vcc_lo
	v_mul_hi_u32 v8, s0, v4
	v_mul_lo_u32 v10, s26, v4
	v_mul_lo_u32 v9, s0, v7
	v_add_nc_u32_e32 v8, v8, v9
	v_mul_lo_u32 v9, s0, v4
	v_add_nc_u32_e32 v8, v8, v10
	v_mul_hi_u32 v10, v4, v9
	v_mul_lo_u32 v11, v4, v8
	v_mul_hi_u32 v12, v4, v8
	v_mul_hi_u32 v13, v7, v9
	v_mul_lo_u32 v9, v7, v9
	v_mul_hi_u32 v14, v7, v8
	v_mul_lo_u32 v8, v7, v8
	v_add_co_u32 v10, vcc_lo, v10, v11
	v_add_co_ci_u32_e32 v11, vcc_lo, 0, v12, vcc_lo
	v_add_co_u32 v9, vcc_lo, v10, v9
	v_add_co_ci_u32_e32 v9, vcc_lo, v11, v13, vcc_lo
	v_add_co_ci_u32_e32 v10, vcc_lo, 0, v14, vcc_lo
	v_add_co_u32 v8, vcc_lo, v9, v8
	v_add_co_ci_u32_e32 v9, vcc_lo, 0, v10, vcc_lo
	v_add_co_u32 v4, vcc_lo, v4, v8
	v_add_co_ci_u32_e32 v11, vcc_lo, v7, v9, vcc_lo
	v_mul_hi_u32 v13, v5, v4
	v_mad_u64_u32 v[9:10], null, v6, v4, 0
	v_mad_u64_u32 v[7:8], null, v5, v11, 0
	;; [unrolled: 1-line block ×3, first 2 shown]
	v_add_co_u32 v4, vcc_lo, v13, v7
	v_add_co_ci_u32_e32 v7, vcc_lo, 0, v8, vcc_lo
	v_add_co_u32 v4, vcc_lo, v4, v9
	v_add_co_ci_u32_e32 v4, vcc_lo, v7, v10, vcc_lo
	v_add_co_ci_u32_e32 v7, vcc_lo, 0, v12, vcc_lo
	v_add_co_u32 v4, vcc_lo, v4, v11
	v_add_co_ci_u32_e32 v9, vcc_lo, 0, v7, vcc_lo
	v_mul_lo_u32 v10, s25, v4
	v_mad_u64_u32 v[7:8], null, s24, v4, 0
	v_mul_lo_u32 v11, s24, v9
	v_sub_co_u32 v7, vcc_lo, v5, v7
	v_add3_u32 v8, v8, v11, v10
	v_sub_nc_u32_e32 v10, v6, v8
	v_subrev_co_ci_u32_e64 v10, s0, s25, v10, vcc_lo
	v_add_co_u32 v11, s0, v4, 2
	v_add_co_ci_u32_e64 v12, s0, 0, v9, s0
	v_sub_co_u32 v13, s0, v7, s24
	v_sub_co_ci_u32_e32 v8, vcc_lo, v6, v8, vcc_lo
	v_subrev_co_ci_u32_e64 v10, s0, 0, v10, s0
	v_cmp_le_u32_e32 vcc_lo, s24, v13
	v_cmp_eq_u32_e64 s0, s25, v8
	v_cndmask_b32_e64 v13, 0, -1, vcc_lo
	v_cmp_le_u32_e32 vcc_lo, s25, v10
	v_cndmask_b32_e64 v14, 0, -1, vcc_lo
	v_cmp_le_u32_e32 vcc_lo, s24, v7
	;; [unrolled: 2-line block ×3, first 2 shown]
	v_cndmask_b32_e64 v15, 0, -1, vcc_lo
	v_cmp_eq_u32_e32 vcc_lo, s25, v10
	v_cndmask_b32_e64 v7, v15, v7, s0
	v_cndmask_b32_e32 v10, v14, v13, vcc_lo
	v_add_co_u32 v13, vcc_lo, v4, 1
	v_add_co_ci_u32_e32 v14, vcc_lo, 0, v9, vcc_lo
	v_cmp_ne_u32_e32 vcc_lo, 0, v10
	v_cndmask_b32_e32 v8, v14, v12, vcc_lo
	v_cndmask_b32_e32 v10, v13, v11, vcc_lo
	v_cmp_ne_u32_e32 vcc_lo, 0, v7
	v_cndmask_b32_e32 v25, v9, v8, vcc_lo
	v_cndmask_b32_e32 v24, v4, v10, vcc_lo
.LBB0_4:                                ;   in Loop: Header=BB0_2 Depth=1
	s_andn2_saveexec_b32 s0, s1
	s_cbranch_execz .LBB0_6
; %bb.5:                                ;   in Loop: Header=BB0_2 Depth=1
	v_cvt_f32_u32_e32 v4, s24
	s_sub_i32 s1, 0, s24
	v_mov_b32_e32 v25, v3
	v_rcp_iflag_f32_e32 v4, v4
	v_mul_f32_e32 v4, 0x4f7ffffe, v4
	v_cvt_u32_f32_e32 v4, v4
	v_mul_lo_u32 v7, s1, v4
	v_mul_hi_u32 v7, v4, v7
	v_add_nc_u32_e32 v4, v4, v7
	v_mul_hi_u32 v4, v5, v4
	v_mul_lo_u32 v7, v4, s24
	v_add_nc_u32_e32 v8, 1, v4
	v_sub_nc_u32_e32 v7, v5, v7
	v_subrev_nc_u32_e32 v9, s24, v7
	v_cmp_le_u32_e32 vcc_lo, s24, v7
	v_cndmask_b32_e32 v7, v7, v9, vcc_lo
	v_cndmask_b32_e32 v4, v4, v8, vcc_lo
	v_cmp_le_u32_e32 vcc_lo, s24, v7
	v_add_nc_u32_e32 v8, 1, v4
	v_cndmask_b32_e32 v24, v4, v8, vcc_lo
.LBB0_6:                                ;   in Loop: Header=BB0_2 Depth=1
	s_or_b32 exec_lo, exec_lo, s0
	v_mul_lo_u32 v4, v25, s24
	v_mul_lo_u32 v9, v24, s25
	s_load_dwordx2 s[0:1], s[6:7], 0x0
	v_mad_u64_u32 v[7:8], null, v24, s24, 0
	s_load_dwordx2 s[24:25], s[2:3], 0x0
	s_add_u32 s22, s22, 1
	s_addc_u32 s23, s23, 0
	s_add_u32 s2, s2, 8
	s_addc_u32 s3, s3, 0
	s_add_u32 s6, s6, 8
	v_add3_u32 v4, v8, v9, v4
	v_sub_co_u32 v5, vcc_lo, v5, v7
	s_addc_u32 s7, s7, 0
	s_add_u32 s20, s20, 8
	v_sub_co_ci_u32_e32 v4, vcc_lo, v6, v4, vcc_lo
	s_addc_u32 s21, s21, 0
	s_waitcnt lgkmcnt(0)
	v_mul_lo_u32 v6, s0, v4
	v_mul_lo_u32 v7, s1, v5
	v_mad_u64_u32 v[1:2], null, s0, v5, v[1:2]
	v_mul_lo_u32 v4, s24, v4
	v_mul_lo_u32 v8, s25, v5
	v_mad_u64_u32 v[22:23], null, s24, v5, v[22:23]
	v_cmp_ge_u64_e64 s0, s[22:23], s[14:15]
	v_add3_u32 v2, v7, v2, v6
	v_add3_u32 v23, v8, v23, v4
	s_and_b32 vcc_lo, exec_lo, s0
	s_cbranch_vccnz .LBB0_9
; %bb.7:                                ;   in Loop: Header=BB0_2 Depth=1
	v_mov_b32_e32 v5, v24
	v_mov_b32_e32 v6, v25
	s_branch .LBB0_2
.LBB0_8:
	v_mov_b32_e32 v23, v2
	v_mov_b32_e32 v25, v6
	;; [unrolled: 1-line block ×4, first 2 shown]
.LBB0_9:
	s_load_dwordx2 s[0:1], s[4:5], 0x28
	v_mul_hi_u32 v5, 0x2aaaaab, v0
	s_lshl_b64 s[4:5], s[14:15], 3
                                        ; implicit-def: $vgpr20
                                        ; implicit-def: $vgpr3_vgpr4
	s_add_u32 s2, s18, s4
	s_addc_u32 s3, s19, s5
	s_waitcnt lgkmcnt(0)
	v_cmp_gt_u64_e32 vcc_lo, s[0:1], v[24:25]
	v_cmp_le_u64_e64 s0, s[0:1], v[24:25]
	s_and_saveexec_b32 s1, s0
	s_xor_b32 s0, exec_lo, s1
; %bb.10:
	v_mul_u32_u24_e32 v1, 0x60, v5
	v_mov_b32_e32 v21, 0
                                        ; implicit-def: $vgpr5
	v_sub_nc_u32_e32 v20, v0, v1
                                        ; implicit-def: $vgpr0
                                        ; implicit-def: $vgpr1_vgpr2
	v_mov_b32_e32 v3, v20
	v_mov_b32_e32 v4, v21
; %bb.11:
	s_or_saveexec_b32 s1, s0
	s_load_dwordx2 s[2:3], s[2:3], 0x0
	s_xor_b32 exec_lo, exec_lo, s1
	s_cbranch_execz .LBB0_15
; %bb.12:
	s_add_u32 s4, s16, s4
	s_addc_u32 s5, s17, s5
	v_mul_u32_u24_e32 v5, 0x60, v5
	s_load_dwordx2 s[4:5], s[4:5], 0x0
	v_mov_b32_e32 v21, 0
	v_sub_nc_u32_e32 v20, v0, v5
	v_lshlrev_b64 v[0:1], 2, v[1:2]
	v_lshlrev_b32_e32 v12, 2, v20
	v_or_b32_e32 v5, 0xc00, v12
	v_or_b32_e32 v13, 0x1800, v12
	s_waitcnt lgkmcnt(0)
	v_mul_lo_u32 v6, s5, v24
	v_mul_lo_u32 v7, s4, v25
	v_mad_u64_u32 v[3:4], null, s4, v24, 0
	v_add3_u32 v4, v4, v7, v6
	v_or_b32_e32 v6, 0x1200, v12
	v_lshlrev_b64 v[3:4], 2, v[3:4]
	v_add_co_u32 v2, s0, s8, v3
	v_add_co_ci_u32_e64 v3, s0, s9, v4, s0
	v_add_co_u32 v0, s0, v2, v0
	v_add_co_ci_u32_e64 v1, s0, v3, v1, s0
	;; [unrolled: 2-line block ×7, first 2 shown]
	s_clause 0xf
	global_load_dword v14, v[2:3], off
	global_load_dword v15, v[2:3], off offset:384
	global_load_dword v16, v[2:3], off offset:768
	;; [unrolled: 1-line block ×11, first 2 shown]
	global_load_dword v32, v[6:7], off
	global_load_dword v33, v[10:11], off offset:1664
	global_load_dword v34, v[4:5], off
	global_load_dword v35, v[8:9], off offset:1792
	v_add_co_u32 v4, s0, v0, v13
	v_or_b32_e32 v8, 0x1e00, v12
	v_add_co_ci_u32_e64 v5, s0, 0, v1, s0
	v_add_co_u32 v6, s0, 0x1800, v2
	v_add_co_ci_u32_e64 v7, s0, 0, v3, s0
	v_add_co_u32 v8, s0, v0, v8
	;; [unrolled: 2-line block ×3, first 2 shown]
	s_clause 0x3
	global_load_dword v13, v[4:5], off
	global_load_dword v36, v[6:7], off offset:384
	global_load_dword v37, v[6:7], off offset:768
	;; [unrolled: 1-line block ×3, first 2 shown]
	v_or_b32_e32 v4, 0x2400, v12
	v_add_co_ci_u32_e64 v11, s0, 0, v3, s0
	s_clause 0x3
	global_load_dword v39, v[10:11], off offset:256
	global_load_dword v40, v[10:11], off offset:640
	global_load_dword v8, v[8:9], off
	global_load_dword v9, v[6:7], off offset:1920
	v_add_co_u32 v4, s0, v0, v4
	v_add_co_ci_u32_e64 v5, s0, 0, v1, s0
	v_or_b32_e32 v6, 0x2a00, v12
	v_add_co_u32 v2, s0, 0x2800, v2
	v_add_co_ci_u32_e64 v3, s0, 0, v3, s0
	v_add_co_u32 v6, s0, v0, v6
	v_add_co_ci_u32_e64 v7, s0, 0, v1, s0
	s_clause 0x5
	global_load_dword v41, v[10:11], off offset:1408
	global_load_dword v42, v[2:3], off offset:128
	;; [unrolled: 1-line block ×3, first 2 shown]
	global_load_dword v5, v[4:5], off
	global_load_dword v10, v[10:11], off offset:1792
	global_load_dword v6, v[6:7], off
	v_add_nc_u32_e32 v7, 0, v12
	v_mov_b32_e32 v3, v20
	v_cmp_eq_u32_e64 s0, 0x5f, v20
	v_mov_b32_e32 v4, v21
	v_add_nc_u32_e32 v11, 0x200, v7
	v_add_nc_u32_e32 v12, 0x400, v7
	;; [unrolled: 1-line block ×14, first 2 shown]
	s_waitcnt vmcnt(28)
	ds_write2_b32 v7, v14, v15 offset1:96
	s_waitcnt vmcnt(26)
	ds_write2_b32 v11, v16, v17 offset0:64 offset1:160
	s_waitcnt vmcnt(24)
	ds_write2_b32 v12, v18, v19 offset0:128 offset1:224
	;; [unrolled: 2-line block ×3, first 2 shown]
	s_waitcnt vmcnt(15)
	ds_write2_b32 v44, v34, v28 offset1:96
	s_waitcnt vmcnt(14)
	ds_write2_b32 v45, v35, v29 offset0:64 offset1:160
	ds_write2_b32 v46, v32, v30 offset0:128 offset1:224
	;; [unrolled: 1-line block ×3, first 2 shown]
	s_waitcnt vmcnt(12)
	ds_write2_b32 v48, v13, v36 offset1:96
	s_waitcnt vmcnt(10)
	ds_write2_b32 v49, v37, v38 offset0:64 offset1:160
	s_waitcnt vmcnt(6)
	ds_write2_b32 v50, v8, v9 offset0:128 offset1:224
	ds_write2_b32 v51, v39, v40 offset0:64 offset1:160
	s_waitcnt vmcnt(2)
	ds_write2_b32 v52, v5, v41 offset1:96
	s_waitcnt vmcnt(1)
	ds_write2_b32 v53, v10, v42 offset0:64 offset1:160
	s_waitcnt vmcnt(0)
	ds_write2_b32 v54, v6, v2 offset0:128 offset1:224
	s_and_saveexec_b32 s4, s0
	s_cbranch_execz .LBB0_14
; %bb.13:
	v_add_co_u32 v0, s0, 0x2800, v0
	v_add_co_ci_u32_e64 v1, s0, 0, v1, s0
	v_mov_b32_e32 v3, 0x5f
	v_mov_b32_e32 v4, 0
	;; [unrolled: 1-line block ×3, first 2 shown]
	global_load_dword v0, v[0:1], off offset:1280
	s_waitcnt vmcnt(0)
	ds_write_b32 v21, v0 offset:11520
.LBB0_14:
	s_or_b32 exec_lo, exec_lo, s4
.LBB0_15:
	s_or_b32 exec_lo, exec_lo, s1
	v_lshlrev_b32_e32 v0, 2, v20
	s_waitcnt lgkmcnt(0)
	s_barrier
	buffer_gl0_inv
	v_lshlrev_b64 v[30:31], 2, v[3:4]
	v_add_nc_u32_e32 v39, 0, v0
	v_sub_nc_u32_e32 v0, 0, v0
	s_add_u32 s1, s12, 0x2cd8
	s_addc_u32 s4, s13, 0
	s_mov_b32 s5, exec_lo
	ds_read_u16 v5, v39
	ds_read_u16 v6, v0 offset:11520
	s_waitcnt lgkmcnt(0)
	v_add_f16_e32 v1, v6, v5
	v_sub_f16_e32 v2, v5, v6
	v_cmpx_ne_u32_e32 0, v20
	s_xor_b32 s5, exec_lo, s5
	s_cbranch_execz .LBB0_17
; %bb.16:
	v_add_co_u32 v1, s0, s1, v30
	v_add_co_ci_u32_e64 v2, s0, s4, v31, s0
	v_add_f16_e32 v4, v6, v5
	v_sub_f16_e32 v5, v5, v6
	global_load_dword v3, v[1:2], off
	ds_read_u16 v1, v0 offset:11522
	ds_read_u16 v2, v39 offset:2
	s_waitcnt lgkmcnt(0)
	v_add_f16_e32 v6, v1, v2
	v_sub_f16_e32 v1, v2, v1
	s_waitcnt vmcnt(0)
	v_lshrrev_b32_e32 v7, 16, v3
	v_fma_f16 v8, -v5, v7, v4
	v_fma_f16 v9, v6, v7, -v1
	v_fma_f16 v4, v5, v7, v4
	v_fma_f16 v2, v6, v7, v1
	v_fmac_f16_e32 v8, v3, v6
	v_fmac_f16_e32 v9, v5, v3
	v_fma_f16 v1, -v3, v6, v4
	v_fmac_f16_e32 v2, v5, v3
	v_pack_b32_f16 v4, v8, v9
	ds_write_b32 v0, v4 offset:11520
.LBB0_17:
	s_andn2_saveexec_b32 s0, s5
	s_cbranch_execz .LBB0_19
; %bb.18:
	v_mov_b32_e32 v3, 0
	ds_read_b32 v4, v3 offset:5760
	s_waitcnt lgkmcnt(0)
	v_pk_mul_f16 v4, 0xc0004000, v4
	ds_write_b32 v3, v4 offset:5760
.LBB0_19:
	s_or_b32 exec_lo, exec_lo, s0
	v_mov_b32_e32 v21, 0
	v_perm_b32 v1, v2, v1, 0x5040100
	v_or_b32_e32 v32, 0x300, v20
	v_or_b32_e32 v36, 0x480, v20
	v_add_nc_u32_e32 v43, 0x1800, v39
	v_lshlrev_b64 v[34:35], 2, v[20:21]
	v_mov_b32_e32 v33, v21
	v_mov_b32_e32 v37, v21
	v_add_nc_u32_e32 v44, 0x800, v39
	v_add_nc_u32_e32 v42, 0x2000, v39
	;; [unrolled: 1-line block ×3, first 2 shown]
	v_add_co_u32 v3, s0, s1, v34
	v_add_co_ci_u32_e64 v4, s0, s4, v35, s0
	v_lshlrev_b64 v[26:27], 2, v[32:33]
	v_add_co_u32 v5, s0, 0x800, v3
	s_clause 0x4
	global_load_dword v7, v[3:4], off offset:384
	global_load_dword v8, v[3:4], off offset:768
	;; [unrolled: 1-line block ×5, first 2 shown]
	v_add_co_ci_u32_e64 v6, s0, 0, v4, s0
	v_add_nc_u32_e32 v33, 0x400, v39
	v_add_nc_u32_e32 v40, 0xe00, v39
	s_clause 0x1
	global_load_dword v12, v[5:6], off offset:256
	global_load_dword v13, v[5:6], off offset:640
	ds_write_b32 v39, v1
	ds_read_b32 v14, v39 offset:384
	ds_read_b32 v15, v0 offset:11136
	v_add_co_u32 v1, s0, s1, v26
	v_add_co_ci_u32_e64 v2, s0, s4, v27, s0
	global_load_dword v16, v[5:6], off offset:1408
	v_add_nc_u32_e32 v46, 0x2400, v39
	v_add_nc_u32_e32 v41, 0x2800, v39
	;; [unrolled: 1-line block ×8, first 2 shown]
	v_add_nc_u16 v55, v20, 0x60
	v_add_nc_u32_e32 v56, 0xc0, v20
	v_mov_b32_e32 v54, 5
	s_waitcnt lgkmcnt(0)
	v_add_f16_e32 v17, v14, v15
	v_add_f16_sdwa v18, v15, v14 dst_sel:DWORD dst_unused:UNUSED_PAD src0_sel:WORD_1 src1_sel:WORD_1
	v_sub_f16_e32 v19, v14, v15
	v_sub_f16_sdwa v14, v14, v15 dst_sel:DWORD dst_unused:UNUSED_PAD src0_sel:WORD_1 src1_sel:WORD_1
	global_load_dword v15, v[1:2], off
	s_waitcnt vmcnt(8)
	v_lshrrev_b32_e32 v28, 16, v7
	v_fma_f16 v1, v19, v28, v17
	v_fma_f16 v2, v18, v28, v14
	v_fma_f16 v17, -v19, v28, v17
	v_fma_f16 v14, v18, v28, -v14
	v_lshlrev_b64 v[28:29], 2, v[36:37]
	v_fma_f16 v1, -v7, v18, v1
	v_fmac_f16_e32 v2, v19, v7
	v_fmac_f16_e32 v17, v7, v18
	v_fmac_f16_e32 v14, v19, v7
	s_waitcnt vmcnt(7)
	v_lshrrev_b32_e32 v7, 16, v8
	v_pack_b32_f16 v1, v1, v2
	v_pack_b32_f16 v2, v17, v14
	ds_write_b32 v39, v1 offset:384
	ds_write_b32 v0, v2 offset:11136
	ds_read_b32 v1, v39 offset:768
	ds_read_b32 v2, v0 offset:10752
	s_waitcnt lgkmcnt(0)
	v_add_f16_e32 v14, v1, v2
	v_add_f16_sdwa v17, v2, v1 dst_sel:DWORD dst_unused:UNUSED_PAD src0_sel:WORD_1 src1_sel:WORD_1
	v_sub_f16_e32 v18, v1, v2
	v_sub_f16_sdwa v1, v1, v2 dst_sel:DWORD dst_unused:UNUSED_PAD src0_sel:WORD_1 src1_sel:WORD_1
	v_fma_f16 v2, v18, v7, v14
	v_fma_f16 v19, v17, v7, v1
	v_fma_f16 v14, -v18, v7, v14
	v_fma_f16 v1, v17, v7, -v1
	v_fma_f16 v2, -v8, v17, v2
	v_fmac_f16_e32 v19, v18, v8
	v_fmac_f16_e32 v14, v8, v17
	;; [unrolled: 1-line block ×3, first 2 shown]
	v_pack_b32_f16 v2, v2, v19
	v_pack_b32_f16 v1, v14, v1
	ds_write_b32 v39, v2 offset:768
	ds_write_b32 v0, v1 offset:10752
	ds_read_b32 v7, v39 offset:1152
	ds_read_b32 v8, v0 offset:10368
	v_add_co_u32 v1, s0, 0x1000, v3
	v_add_co_ci_u32_e64 v2, s0, 0, v4, s0
	s_waitcnt vmcnt(6)
	v_lshrrev_b32_e32 v3, 16, v9
	s_waitcnt lgkmcnt(0)
	v_add_f16_e32 v4, v7, v8
	v_add_f16_sdwa v14, v8, v7 dst_sel:DWORD dst_unused:UNUSED_PAD src0_sel:WORD_1 src1_sel:WORD_1
	v_sub_f16_e32 v17, v7, v8
	v_sub_f16_sdwa v7, v7, v8 dst_sel:DWORD dst_unused:UNUSED_PAD src0_sel:WORD_1 src1_sel:WORD_1
	s_clause 0x3
	global_load_dword v8, v[1:2], off offset:128
	global_load_dword v18, v[1:2], off offset:896
	;; [unrolled: 1-line block ×4, first 2 shown]
	v_fma_f16 v2, v17, v3, v4
	v_fma_f16 v6, v14, v3, v7
	v_fma_f16 v4, -v17, v3, v4
	v_fma_f16 v3, v14, v3, -v7
	v_fma_f16 v2, -v9, v14, v2
	v_fmac_f16_e32 v6, v17, v9
	v_fmac_f16_e32 v4, v9, v14
	v_fmac_f16_e32 v3, v17, v9
	v_pack_b32_f16 v2, v2, v6
	v_pack_b32_f16 v3, v4, v3
	ds_write_b32 v39, v2 offset:1152
	ds_write_b32 v0, v3 offset:10368
	ds_read_b32 v2, v39 offset:1536
	ds_read_b32 v3, v0 offset:9984
	s_waitcnt vmcnt(9)
	v_lshrrev_b32_e32 v4, 16, v10
	s_waitcnt lgkmcnt(0)
	v_add_f16_e32 v6, v2, v3
	v_add_f16_sdwa v7, v3, v2 dst_sel:DWORD dst_unused:UNUSED_PAD src0_sel:WORD_1 src1_sel:WORD_1
	v_sub_f16_e32 v9, v2, v3
	v_sub_f16_sdwa v2, v2, v3 dst_sel:DWORD dst_unused:UNUSED_PAD src0_sel:WORD_1 src1_sel:WORD_1
	v_fma_f16 v3, v9, v4, v6
	v_fma_f16 v14, v7, v4, v2
	v_fma_f16 v6, -v9, v4, v6
	v_fma_f16 v2, v7, v4, -v2
	v_fma_f16 v3, -v10, v7, v3
	v_fmac_f16_e32 v14, v9, v10
	v_fmac_f16_e32 v6, v10, v7
	;; [unrolled: 1-line block ×3, first 2 shown]
	s_waitcnt vmcnt(8)
	v_lshrrev_b32_e32 v7, 16, v11
	v_pack_b32_f16 v3, v3, v14
	v_pack_b32_f16 v2, v6, v2
	ds_write_b32 v39, v3 offset:1536
	ds_write_b32 v0, v2 offset:9984
	v_add_co_u32 v2, s0, s1, v28
	v_add_co_ci_u32_e64 v3, s0, s4, v29, s0
	ds_read_b32 v4, v39 offset:1920
	ds_read_b32 v6, v0 offset:9600
	v_cmp_gt_u32_e64 s0, 60, v20
	global_load_dword v2, v[2:3], off
	s_waitcnt lgkmcnt(0)
	v_add_f16_e32 v9, v4, v6
	v_add_f16_sdwa v10, v6, v4 dst_sel:DWORD dst_unused:UNUSED_PAD src0_sel:WORD_1 src1_sel:WORD_1
	v_sub_f16_e32 v14, v4, v6
	v_sub_f16_sdwa v4, v4, v6 dst_sel:DWORD dst_unused:UNUSED_PAD src0_sel:WORD_1 src1_sel:WORD_1
	v_fma_f16 v3, v14, v7, v9
	v_fma_f16 v6, v10, v7, v4
	v_fma_f16 v9, -v14, v7, v9
	v_fma_f16 v4, v10, v7, -v4
	v_fma_f16 v3, -v11, v10, v3
	v_fmac_f16_e32 v6, v14, v11
	v_fmac_f16_e32 v9, v11, v10
	;; [unrolled: 1-line block ×3, first 2 shown]
	v_pack_b32_f16 v3, v3, v6
	s_waitcnt vmcnt(8)
	v_lshrrev_b32_e32 v6, 16, v12
	v_pack_b32_f16 v4, v9, v4
	ds_write_b32 v39, v3 offset:1920
	ds_write_b32 v0, v4 offset:9600
	ds_read_b32 v3, v39 offset:2304
	ds_read_b32 v4, v0 offset:9216
	s_waitcnt lgkmcnt(0)
	v_add_f16_e32 v7, v3, v4
	v_add_f16_sdwa v9, v4, v3 dst_sel:DWORD dst_unused:UNUSED_PAD src0_sel:WORD_1 src1_sel:WORD_1
	v_sub_f16_e32 v10, v3, v4
	v_sub_f16_sdwa v3, v3, v4 dst_sel:DWORD dst_unused:UNUSED_PAD src0_sel:WORD_1 src1_sel:WORD_1
	v_fma_f16 v4, v10, v6, v7
	v_fma_f16 v11, v9, v6, v3
	v_fma_f16 v7, -v10, v6, v7
	v_fma_f16 v3, v9, v6, -v3
	s_waitcnt vmcnt(7)
	v_lshrrev_b32_e32 v6, 16, v13
	v_fma_f16 v4, -v12, v9, v4
	v_fmac_f16_e32 v11, v10, v12
	v_fmac_f16_e32 v7, v12, v9
	;; [unrolled: 1-line block ×3, first 2 shown]
	v_pack_b32_f16 v4, v4, v11
	v_pack_b32_f16 v3, v7, v3
	ds_write_b32 v39, v4 offset:2304
	ds_write_b32 v0, v3 offset:9216
	ds_read_b32 v3, v39 offset:2688
	ds_read_b32 v4, v0 offset:8832
	s_waitcnt lgkmcnt(0)
	v_add_f16_e32 v7, v3, v4
	v_add_f16_sdwa v9, v4, v3 dst_sel:DWORD dst_unused:UNUSED_PAD src0_sel:WORD_1 src1_sel:WORD_1
	v_sub_f16_e32 v10, v3, v4
	v_sub_f16_sdwa v3, v3, v4 dst_sel:DWORD dst_unused:UNUSED_PAD src0_sel:WORD_1 src1_sel:WORD_1
	v_fma_f16 v4, v10, v6, v7
	v_fma_f16 v11, v9, v6, v3
	v_fma_f16 v7, -v10, v6, v7
	v_fma_f16 v3, v9, v6, -v3
	s_waitcnt vmcnt(5)
	v_lshrrev_b32_e32 v6, 16, v15
	v_fma_f16 v4, -v13, v9, v4
	v_fmac_f16_e32 v11, v10, v13
	v_fmac_f16_e32 v7, v13, v9
	;; [unrolled: 1-line block ×3, first 2 shown]
	v_pack_b32_f16 v4, v4, v11
	v_pack_b32_f16 v3, v7, v3
	ds_write_b32 v39, v4 offset:2688
	ds_write_b32 v0, v3 offset:8832
	ds_read_b32 v3, v39 offset:3072
	ds_read_b32 v4, v0 offset:8448
	s_waitcnt lgkmcnt(0)
	v_add_f16_e32 v7, v3, v4
	v_add_f16_sdwa v9, v4, v3 dst_sel:DWORD dst_unused:UNUSED_PAD src0_sel:WORD_1 src1_sel:WORD_1
	v_sub_f16_e32 v10, v3, v4
	v_sub_f16_sdwa v3, v3, v4 dst_sel:DWORD dst_unused:UNUSED_PAD src0_sel:WORD_1 src1_sel:WORD_1
	v_fma_f16 v4, v10, v6, v7
	v_fma_f16 v11, v9, v6, v3
	v_fma_f16 v7, -v10, v6, v7
	v_fma_f16 v3, v9, v6, -v3
	v_lshrrev_b32_e32 v6, 16, v16
	v_fma_f16 v4, -v15, v9, v4
	v_fmac_f16_e32 v11, v10, v15
	v_fmac_f16_e32 v7, v15, v9
	;; [unrolled: 1-line block ×3, first 2 shown]
	v_pack_b32_f16 v4, v4, v11
	v_pack_b32_f16 v3, v7, v3
	ds_write_b32 v39, v4 offset:3072
	ds_write_b32 v0, v3 offset:8448
	ds_read_b32 v3, v39 offset:3456
	ds_read_b32 v4, v0 offset:8064
	s_waitcnt lgkmcnt(0)
	v_add_f16_e32 v7, v3, v4
	v_add_f16_sdwa v9, v4, v3 dst_sel:DWORD dst_unused:UNUSED_PAD src0_sel:WORD_1 src1_sel:WORD_1
	v_sub_f16_e32 v10, v3, v4
	v_sub_f16_sdwa v3, v3, v4 dst_sel:DWORD dst_unused:UNUSED_PAD src0_sel:WORD_1 src1_sel:WORD_1
	v_fma_f16 v4, v10, v6, v7
	v_fma_f16 v11, v9, v6, v3
	v_fma_f16 v7, -v10, v6, v7
	v_fma_f16 v3, v9, v6, -v3
	v_fma_f16 v4, -v16, v9, v4
	v_fmac_f16_e32 v11, v10, v16
	v_fmac_f16_e32 v7, v16, v9
	;; [unrolled: 1-line block ×3, first 2 shown]
	v_pack_b32_f16 v4, v4, v11
	v_pack_b32_f16 v3, v7, v3
	ds_write_b32 v39, v4 offset:3456
	ds_write_b32 v0, v3 offset:8064
	ds_read_b32 v3, v39 offset:3840
	ds_read_b32 v4, v0 offset:7680
	s_waitcnt lgkmcnt(0)
	v_add_f16_e32 v7, v3, v4
	v_add_f16_sdwa v9, v4, v3 dst_sel:DWORD dst_unused:UNUSED_PAD src0_sel:WORD_1 src1_sel:WORD_1
	v_sub_f16_e32 v10, v3, v4
	v_sub_f16_sdwa v3, v3, v4 dst_sel:DWORD dst_unused:UNUSED_PAD src0_sel:WORD_1 src1_sel:WORD_1
	s_waitcnt vmcnt(1)
	v_lshrrev_b32_e32 v6, 16, v5
	v_fma_f16 v4, v10, v6, v7
	v_fma_f16 v11, v9, v6, v3
	v_fma_f16 v7, -v10, v6, v7
	v_fma_f16 v3, v9, v6, -v3
	v_fma_f16 v4, -v5, v9, v4
	v_fmac_f16_e32 v11, v10, v5
	v_fmac_f16_e32 v7, v5, v9
	v_fmac_f16_e32 v3, v10, v5
	v_lshrrev_b32_e32 v5, 16, v8
	v_pack_b32_f16 v4, v4, v11
	v_pack_b32_f16 v3, v7, v3
	ds_write_b32 v39, v4 offset:3840
	ds_write_b32 v0, v3 offset:7680
	ds_read_b32 v3, v39 offset:4224
	ds_read_b32 v4, v0 offset:7296
	s_waitcnt lgkmcnt(0)
	v_add_f16_e32 v6, v3, v4
	v_add_f16_sdwa v7, v4, v3 dst_sel:DWORD dst_unused:UNUSED_PAD src0_sel:WORD_1 src1_sel:WORD_1
	v_sub_f16_e32 v9, v3, v4
	v_sub_f16_sdwa v3, v3, v4 dst_sel:DWORD dst_unused:UNUSED_PAD src0_sel:WORD_1 src1_sel:WORD_1
	v_fma_f16 v4, v9, v5, v6
	v_fma_f16 v10, v7, v5, v3
	v_fma_f16 v6, -v9, v5, v6
	v_fma_f16 v3, v7, v5, -v3
	v_fma_f16 v4, -v8, v7, v4
	v_fmac_f16_e32 v10, v9, v8
	v_fmac_f16_e32 v6, v8, v7
	;; [unrolled: 1-line block ×3, first 2 shown]
	v_pack_b32_f16 v4, v4, v10
	v_mov_b32_e32 v10, 0xcccd
	v_pack_b32_f16 v3, v6, v3
	ds_write_b32 v39, v4 offset:4224
	ds_write_b32 v0, v3 offset:7296
	ds_read_b32 v3, v39 offset:4608
	ds_read_b32 v4, v0 offset:6912
	s_waitcnt vmcnt(0)
	v_lshrrev_b32_e32 v5, 16, v2
	s_waitcnt lgkmcnt(0)
	v_add_f16_e32 v6, v3, v4
	v_add_f16_sdwa v7, v4, v3 dst_sel:DWORD dst_unused:UNUSED_PAD src0_sel:WORD_1 src1_sel:WORD_1
	v_sub_f16_e32 v8, v3, v4
	v_sub_f16_sdwa v3, v3, v4 dst_sel:DWORD dst_unused:UNUSED_PAD src0_sel:WORD_1 src1_sel:WORD_1
	v_fma_f16 v4, v8, v5, v6
	v_fma_f16 v9, v7, v5, v3
	v_fma_f16 v6, -v8, v5, v6
	v_fma_f16 v3, v7, v5, -v3
	v_fma_f16 v4, -v2, v7, v4
	v_fmac_f16_e32 v9, v8, v2
	v_fmac_f16_e32 v6, v2, v7
	;; [unrolled: 1-line block ×3, first 2 shown]
	v_pack_b32_f16 v2, v4, v9
	v_lshrrev_b32_e32 v4, 16, v18
	v_pack_b32_f16 v3, v6, v3
	ds_write_b32 v39, v2 offset:4608
	ds_write_b32 v0, v3 offset:6912
	ds_read_b32 v2, v39 offset:4992
	ds_read_b32 v3, v0 offset:6528
	s_waitcnt lgkmcnt(0)
	v_add_f16_e32 v5, v2, v3
	v_add_f16_sdwa v6, v3, v2 dst_sel:DWORD dst_unused:UNUSED_PAD src0_sel:WORD_1 src1_sel:WORD_1
	v_sub_f16_e32 v7, v2, v3
	v_sub_f16_sdwa v2, v2, v3 dst_sel:DWORD dst_unused:UNUSED_PAD src0_sel:WORD_1 src1_sel:WORD_1
	v_fma_f16 v3, v7, v4, v5
	v_fma_f16 v8, v6, v4, v2
	v_fma_f16 v5, -v7, v4, v5
	v_fma_f16 v2, v6, v4, -v2
	v_lshrrev_b32_e32 v4, 16, v1
	v_fma_f16 v3, -v18, v6, v3
	v_fmac_f16_e32 v8, v7, v18
	v_fmac_f16_e32 v5, v18, v6
	;; [unrolled: 1-line block ×3, first 2 shown]
	v_pack_b32_f16 v3, v3, v8
	v_pack_b32_f16 v2, v5, v2
	ds_write_b32 v39, v3 offset:4992
	ds_write_b32 v0, v2 offset:6528
	ds_read_b32 v2, v39 offset:5376
	ds_read_b32 v3, v0 offset:6144
	s_waitcnt lgkmcnt(0)
	v_add_f16_e32 v5, v2, v3
	v_add_f16_sdwa v6, v3, v2 dst_sel:DWORD dst_unused:UNUSED_PAD src0_sel:WORD_1 src1_sel:WORD_1
	v_sub_f16_e32 v7, v2, v3
	v_sub_f16_sdwa v2, v2, v3 dst_sel:DWORD dst_unused:UNUSED_PAD src0_sel:WORD_1 src1_sel:WORD_1
	v_fma_f16 v3, v7, v4, v5
	v_fma_f16 v8, v6, v4, v2
	v_fma_f16 v5, -v7, v4, v5
	v_fma_f16 v2, v6, v4, -v2
	v_fma_f16 v3, -v1, v6, v3
	v_fmac_f16_e32 v8, v7, v1
	v_fmac_f16_e32 v5, v1, v6
	;; [unrolled: 1-line block ×3, first 2 shown]
	v_mul_u32_u24_e32 v6, 10, v20
	v_and_b32_e32 v7, 0xff, v20
	v_pack_b32_f16 v1, v3, v8
	v_pack_b32_f16 v2, v5, v2
	ds_write_b32 v39, v1 offset:5376
	ds_write_b32 v0, v2 offset:6144
	s_waitcnt lgkmcnt(0)
	s_barrier
	buffer_gl0_inv
	s_barrier
	buffer_gl0_inv
	ds_read2_b32 v[12:13], v43 offset1:96
	ds_read2_b32 v[2:3], v42 offset0:64 offset1:160
	ds_read2_b32 v[14:15], v40 offset0:64 offset1:160
	;; [unrolled: 1-line block ×5, first 2 shown]
	ds_read2_b32 v[4:5], v46 offset1:96
	ds_read2_b32 v[37:38], v45 offset0:128 offset1:224
	v_lshl_add_u32 v11, v6, 2, 0
	v_mul_lo_u16 v69, 0xcd, v7
	ds_read2_b32 v[57:58], v33 offset0:128 offset1:224
	ds_read2_b32 v[59:60], v39 offset1:96
	ds_read2_b32 v[61:62], v48 offset0:64 offset1:160
	ds_read2_b32 v[63:64], v50 offset1:96
	ds_read2_b32 v[65:66], v49 offset0:64 offset1:160
	ds_read2_b32 v[8:9], v52 offset0:128 offset1:224
	;; [unrolled: 1-line block ×3, first 2 shown]
	s_waitcnt lgkmcnt(0)
	s_barrier
	buffer_gl0_inv
	v_add_f16_e32 v70, v12, v2
	v_pk_add_f16 v53, v60, v17
	v_pk_add_f16 v71, v59, v16
	v_sub_f16_e32 v99, v17, v38
	v_sub_f16_sdwa v106, v17, v38 dst_sel:DWORD dst_unused:UNUSED_PAD src0_sel:WORD_1 src1_sel:WORD_1
	v_add_f16_e32 v67, v38, v19
	v_add_f16_sdwa v108, v38, v19 dst_sel:DWORD dst_unused:UNUSED_PAD src0_sel:WORD_1 src1_sel:WORD_1
	v_sub_f16_sdwa v89, v38, v19 dst_sel:DWORD dst_unused:UNUSED_PAD src0_sel:WORD_1 src1_sel:WORD_1
	v_sub_f16_e32 v87, v38, v19
	v_pk_add_f16 v68, v57, v14
	v_add_f16_e32 v72, v37, v18
	v_sub_f16_sdwa v93, v37, v18 dst_sel:DWORD dst_unused:UNUSED_PAD src0_sel:WORD_1 src1_sel:WORD_1
	v_sub_f16_e32 v109, v16, v37
	v_sub_f16_e32 v110, v37, v16
	v_add_f16_sdwa v111, v37, v18 dst_sel:DWORD dst_unused:UNUSED_PAD src0_sel:WORD_1 src1_sel:WORD_1
	v_sub_f16_e32 v94, v37, v18
	v_sub_f16_sdwa v112, v16, v37 dst_sel:DWORD dst_unused:UNUSED_PAD src0_sel:WORD_1 src1_sel:WORD_1
	v_sub_f16_sdwa v113, v37, v16 dst_sel:DWORD dst_unused:UNUSED_PAD src0_sel:WORD_1 src1_sel:WORD_1
	v_sub_f16_e32 v114, v38, v17
	v_sub_f16_sdwa v115, v38, v17 dst_sel:DWORD dst_unused:UNUSED_PAD src0_sel:WORD_1 src1_sel:WORD_1
	v_pk_add_f16 v38, v53, v38
	v_pk_add_f16 v37, v71, v37
	v_add_f16_sdwa v81, v12, v2 dst_sel:DWORD dst_unused:UNUSED_PAD src0_sel:WORD_1 src1_sel:WORD_1
	v_sub_f16_sdwa v79, v12, v2 dst_sel:DWORD dst_unused:UNUSED_PAD src0_sel:WORD_1 src1_sel:WORD_1
	v_sub_f16_e32 v76, v12, v2
	v_sub_f16_sdwa v77, v14, v12 dst_sel:DWORD dst_unused:UNUSED_PAD src0_sel:WORD_1 src1_sel:WORD_1
	v_sub_f16_e32 v80, v14, v12
	;; [unrolled: 2-line block ×3, first 2 shown]
	v_sub_f16_sdwa v116, v16, v4 dst_sel:DWORD dst_unused:UNUSED_PAD src0_sel:WORD_1 src1_sel:WORD_1
	v_add_f16_e32 v73, v16, v4
	v_sub_f16_e32 v117, v16, v4
	v_add_f16_sdwa v118, v16, v4 dst_sel:DWORD dst_unused:UNUSED_PAD src0_sel:WORD_1 src1_sel:WORD_1
	v_add_f16_e32 v16, v17, v5
	v_add_f16_sdwa v119, v17, v5 dst_sel:DWORD dst_unused:UNUSED_PAD src0_sel:WORD_1 src1_sel:WORD_1
	v_pk_add_f16 v17, v62, v64
	v_pk_add_f16 v74, v61, v63
	v_add_f16_e32 v82, v65, v8
	v_sub_f16_e32 v132, v63, v65
	v_sub_f16_e32 v133, v65, v63
	v_sub_f16_sdwa v135, v63, v65 dst_sel:DWORD dst_unused:UNUSED_PAD src0_sel:WORD_1 src1_sel:WORD_1
	v_sub_f16_sdwa v136, v65, v63 dst_sel:DWORD dst_unused:UNUSED_PAD src0_sel:WORD_1 src1_sel:WORD_1
	v_sub_f16_sdwa v95, v63, v6 dst_sel:DWORD dst_unused:UNUSED_PAD src0_sel:WORD_1 src1_sel:WORD_1
	v_add_f16_e32 v98, v63, v6
	v_sub_f16_e32 v92, v63, v6
	v_add_f16_sdwa v139, v63, v6 dst_sel:DWORD dst_unused:UNUSED_PAD src0_sel:WORD_1 src1_sel:WORD_1
	v_pk_add_f16 v63, v58, v15
	v_sub_f16_e32 v140, v12, v14
	v_sub_f16_sdwa v141, v12, v14 dst_sel:DWORD dst_unused:UNUSED_PAD src0_sel:WORD_1 src1_sel:WORD_1
	v_add_f16_e32 v100, v13, v3
	v_add_f16_e32 v71, v14, v0
	v_pk_add_f16 v150, v68, v12
	v_add_f16_e32 v12, v15, v1
	v_pk_add_f16 v153, v38, v19
	v_pk_add_f16 v154, v37, v18
	v_and_b32_e32 v37, 0xff, v55
	v_lshrrev_b16 v38, 11, v69
	v_sub_f16_sdwa v78, v14, v0 dst_sel:DWORD dst_unused:UNUSED_PAD src0_sel:WORD_1 src1_sel:WORD_1
	v_sub_f16_e32 v85, v5, v19
	v_sub_f16_sdwa v107, v5, v19 dst_sel:DWORD dst_unused:UNUSED_PAD src0_sel:WORD_1 src1_sel:WORD_1
	v_sub_f16_e32 v124, v19, v5
	v_sub_f16_sdwa v125, v19, v5 dst_sel:DWORD dst_unused:UNUSED_PAD src0_sel:WORD_1 src1_sel:WORD_1
	v_add_f16_e32 v75, v66, v9
	v_sub_f16_sdwa v103, v66, v9 dst_sel:DWORD dst_unused:UNUSED_PAD src0_sel:WORD_1 src1_sel:WORD_1
	v_sub_f16_e32 v126, v64, v66
	v_sub_f16_e32 v127, v66, v64
	v_add_f16_sdwa v128, v66, v9 dst_sel:DWORD dst_unused:UNUSED_PAD src0_sel:WORD_1 src1_sel:WORD_1
	v_sub_f16_e32 v129, v66, v9
	v_sub_f16_sdwa v130, v64, v66 dst_sel:DWORD dst_unused:UNUSED_PAD src0_sel:WORD_1 src1_sel:WORD_1
	v_sub_f16_sdwa v131, v66, v64 dst_sel:DWORD dst_unused:UNUSED_PAD src0_sel:WORD_1 src1_sel:WORD_1
	;; [unrolled: 1-line block ×3, first 2 shown]
	v_add_f16_sdwa v134, v65, v8 dst_sel:DWORD dst_unused:UNUSED_PAD src0_sel:WORD_1 src1_sel:WORD_1
	v_sub_f16_e32 v91, v65, v8
	v_sub_f16_e32 v104, v14, v0
	v_pk_add_f16 v147, v17, v66
	v_pk_add_f16 v148, v74, v65
	v_add_f16_sdwa v149, v14, v0 dst_sel:DWORD dst_unused:UNUSED_PAD src0_sel:WORD_1 src1_sel:WORD_1
	v_pk_add_f16 v151, v63, v13
	v_sub_f16_sdwa v14, v0, v2 dst_sel:DWORD dst_unused:UNUSED_PAD src0_sel:WORD_1 src1_sel:WORD_1
	v_lshrrev_b32_e32 v53, 16, v60
	v_fma_f16 v63, -0.5, v67, v60
	v_fma_f16 v66, -0.5, v72, v59
	;; [unrolled: 1-line block ×4, first 2 shown]
	v_lshrrev_b32_e32 v67, 16, v59
	v_fma_f16 v19, -0.5, v82, v61
	v_fma_f16 v60, -0.5, v98, v61
	v_lshrrev_b32_e32 v17, 16, v61
	v_fma_f16 v73, -0.5, v70, v57
	v_fma_f16 v74, -0.5, v71, v57
	;; [unrolled: 1-line block ×4, first 2 shown]
	v_lshrrev_b32_e32 v82, 16, v58
	v_sub_f16_sdwa v58, v9, v7 dst_sel:DWORD dst_unused:UNUSED_PAD src0_sel:WORD_1 src1_sel:WORD_1
	v_mul_lo_u16 v59, 0xcd, v37
	v_mul_lo_u16 v61, v38, 10
	v_sub_f16_e32 v121, v18, v4
	v_add_f16_e32 v83, v64, v7
	v_sub_f16_sdwa v96, v13, v3 dst_sel:DWORD dst_unused:UNUSED_PAD src0_sel:WORD_1 src1_sel:WORD_1
	v_sub_f16_e32 v142, v15, v13
	v_sub_f16_e32 v143, v13, v15
	v_add_f16_sdwa v144, v13, v3 dst_sel:DWORD dst_unused:UNUSED_PAD src0_sel:WORD_1 src1_sel:WORD_1
	v_sub_f16_e32 v97, v13, v3
	v_sub_f16_sdwa v145, v15, v13 dst_sel:DWORD dst_unused:UNUSED_PAD src0_sel:WORD_1 src1_sel:WORD_1
	v_sub_f16_sdwa v146, v13, v15 dst_sel:DWORD dst_unused:UNUSED_PAD src0_sel:WORD_1 src1_sel:WORD_1
	v_sub_f16_e32 v13, v0, v2
	v_lshrrev_b32_e32 v84, 16, v62
	v_add_f16_e32 v98, v77, v14
	v_fma_f16 v77, -0.5, v111, v67
	v_fmac_f16_e32 v67, -0.5, v118
	v_add_f16_e32 v118, v131, v58
	v_sub_f16_e32 v69, v2, v0
	v_lshrrev_b16 v58, 11, v59
	v_sub_nc_u16 v59, v20, v61
	v_sub_f16_sdwa v61, v2, v0 dst_sel:DWORD dst_unused:UNUSED_PAD src0_sel:WORD_1 src1_sel:WORD_1
	v_sub_f16_e32 v120, v4, v18
	v_sub_f16_sdwa v122, v4, v18 dst_sel:DWORD dst_unused:UNUSED_PAD src0_sel:WORD_1 src1_sel:WORD_1
	v_sub_f16_sdwa v123, v18, v4 dst_sel:DWORD dst_unused:UNUSED_PAD src0_sel:WORD_1 src1_sel:WORD_1
	;; [unrolled: 1-line block ×3, first 2 shown]
	v_sub_f16_e32 v138, v64, v7
	v_add_f16_sdwa v64, v64, v7 dst_sel:DWORD dst_unused:UNUSED_PAD src0_sel:WORD_1 src1_sel:WORD_1
	v_sub_f16_sdwa v101, v15, v1 dst_sel:DWORD dst_unused:UNUSED_PAD src0_sel:WORD_1 src1_sel:WORD_1
	v_sub_f16_e32 v102, v15, v1
	v_add_f16_sdwa v152, v15, v1 dst_sel:DWORD dst_unused:UNUSED_PAD src0_sel:WORD_1 src1_sel:WORD_1
	v_fma_f16 v72, -0.5, v75, v62
	v_fma_f16 v75, -0.5, v83, v62
	v_lshrrev_b32_e32 v83, 16, v57
	v_add_f16_e32 v100, v80, v13
	v_add_f16_e32 v105, v99, v85
	v_sub_f16_e32 v15, v7, v9
	v_sub_f16_sdwa v16, v7, v9 dst_sel:DWORD dst_unused:UNUSED_PAD src0_sel:WORD_1 src1_sel:WORD_1
	v_add_f16_e32 v110, v110, v121
	v_sub_f16_e32 v57, v9, v7
	v_fma_f16 v99, -0.5, v128, v84
	v_fma_f16 v80, -0.5, v108, v53
	v_add_f16_e32 v108, v115, v125
	v_add_f16_e32 v115, v140, v69
	v_sub_f16_e32 v69, v6, v8
	v_add_f16_e32 v121, v141, v61
	v_sub_f16_sdwa v61, v6, v8 dst_sel:DWORD dst_unused:UNUSED_PAD src0_sel:WORD_1 src1_sel:WORD_1
	v_pk_add_f16 v9, v147, v9
	v_add_f16_e32 v106, v106, v107
	v_add_f16_e32 v107, v109, v120
	;; [unrolled: 1-line block ×5, first 2 shown]
	v_fmac_f16_e32 v84, -0.5, v64
	v_add_f16_e32 v114, v114, v124
	v_fmac_f16_e32 v53, -0.5, v119
	v_fma_f16 v119, -0.5, v81, v83
	v_sub_f16_e32 v81, v8, v6
	v_add_f16_e32 v122, v132, v69
	v_sub_f16_sdwa v69, v8, v6 dst_sel:DWORD dst_unused:UNUSED_PAD src0_sel:WORD_1 src1_sel:WORD_1
	v_add_f16_e32 v124, v135, v61
	v_sub_f16_e32 v61, v1, v3
	v_sub_f16_e32 v125, v3, v1
	v_sub_f16_sdwa v127, v1, v3 dst_sel:DWORD dst_unused:UNUSED_PAD src0_sel:WORD_1 src1_sel:WORD_1
	v_sub_f16_sdwa v131, v3, v1 dst_sel:DWORD dst_unused:UNUSED_PAD src0_sel:WORD_1 src1_sel:WORD_1
	v_pk_add_f16 v8, v148, v8
	v_pk_add_f16 v2, v150, v2
	;; [unrolled: 1-line block ×3, first 2 shown]
	v_fmamk_f16 v141, v103, 0x3b9c, v75
	v_fmac_f16_e32 v75, 0xbb9c, v103
	v_pk_add_f16 v7, v9, v7
	v_fmamk_f16 v9, v138, 0x3b9c, v99
	v_fmac_f16_e32 v99, 0xbb9c, v138
	v_fmac_f16_e32 v83, -0.5, v149
	v_fmamk_f16 v135, v116, 0xbb9c, v66
	v_fmac_f16_e32 v66, 0x3b9c, v116
	v_add_f16_e32 v123, v133, v81
	v_fma_f16 v81, -0.5, v134, v17
	v_fma_f16 v132, -0.5, v144, v82
	v_fmac_f16_e32 v82, -0.5, v152
	v_fmamk_f16 v134, v137, 0xbb9c, v72
	v_pk_add_f16 v6, v8, v6
	v_fmamk_f16 v8, v129, 0xbb9c, v84
	v_fmac_f16_e32 v84, 0x3b9c, v129
	v_fmac_f16_e32 v72, 0x3b9c, v137
	v_pk_add_f16 v0, v2, v0
	v_pk_add_f16 v1, v3, v1
	v_fmamk_f16 v2, v104, 0x3b9c, v119
	v_fmamk_f16 v3, v78, 0xbb9c, v73
	v_fmac_f16_e32 v141, 0xb8b4, v137
	v_fmac_f16_e32 v75, 0x38b4, v137
	v_fmamk_f16 v137, v86, 0x3b9c, v80
	v_fmac_f16_e32 v80, 0xbb9c, v86
	v_fmac_f16_e32 v73, 0x3b9c, v78
	;; [unrolled: 1-line block ×4, first 2 shown]
	v_fmamk_f16 v129, v79, 0x3b9c, v74
	v_fmac_f16_e32 v74, 0xbb9c, v79
	v_fmac_f16_e32 v17, -0.5, v139
	v_fmamk_f16 v139, v93, 0x3b9c, v68
	v_fmac_f16_e32 v68, 0xbb9c, v93
	v_fmamk_f16 v140, v94, 0xbb9c, v67
	v_fmac_f16_e32 v67, 0x3b9c, v94
	v_fmac_f16_e32 v135, 0xb8b4, v93
	v_fmac_f16_e32 v66, 0x38b4, v93
	v_fmamk_f16 v93, v76, 0xbb9c, v83
	v_fmac_f16_e32 v83, 0x3b9c, v76
	v_add_f16_e32 v112, v126, v15
	v_add_f16_e32 v126, v136, v69
	v_fmamk_f16 v136, v117, 0x3b9c, v77
	v_fmac_f16_e32 v77, 0xbb9c, v117
	v_fmac_f16_e32 v84, 0xb8b4, v138
	;; [unrolled: 1-line block ×3, first 2 shown]
	v_fmamk_f16 v138, v87, 0xbb9c, v53
	v_fmac_f16_e32 v53, 0x3b9c, v87
	v_fmac_f16_e32 v119, 0xbb9c, v104
	;; [unrolled: 1-line block ×4, first 2 shown]
	v_fmamk_f16 v87, v101, 0xbb9c, v70
	v_fmac_f16_e32 v3, 0xb8b4, v79
	v_fmac_f16_e32 v73, 0x38b4, v79
	v_fmamk_f16 v79, v102, 0x3b9c, v132
	v_fmac_f16_e32 v132, 0xbb9c, v102
	v_fmac_f16_e32 v129, 0xb8b4, v78
	;; [unrolled: 1-line block ×3, first 2 shown]
	v_fmamk_f16 v78, v97, 0xbb9c, v82
	v_fmac_f16_e32 v82, 0x3b9c, v97
	v_fmac_f16_e32 v2, 0x38b4, v76
	v_add_f16_e32 v120, v130, v16
	v_fmac_f16_e32 v139, 0xb8b4, v116
	v_fmac_f16_e32 v68, 0x38b4, v116
	v_fmamk_f16 v116, v88, 0xbb9c, v63
	v_fmac_f16_e32 v63, 0x3b9c, v88
	v_fmac_f16_e32 v140, 0x38b4, v117
	;; [unrolled: 1-line block ×3, first 2 shown]
	v_fmamk_f16 v117, v89, 0x3b9c, v65
	v_fmac_f16_e32 v65, 0xbb9c, v89
	v_fmac_f16_e32 v134, 0xb8b4, v103
	;; [unrolled: 1-line block ×3, first 2 shown]
	v_add_f16_e32 v128, v142, v61
	v_add_f16_e32 v127, v145, v127
	;; [unrolled: 1-line block ×3, first 2 shown]
	v_pk_add_f16 v5, v153, v5
	v_pk_add_f16 v4, v154, v4
	v_fmac_f16_e32 v136, 0x38b4, v94
	v_fmac_f16_e32 v77, 0xb8b4, v94
	v_fmamk_f16 v94, v95, 0xbb9c, v19
	v_fmac_f16_e32 v19, 0x3b9c, v95
	v_fmac_f16_e32 v70, 0x3b9c, v101
	v_fmac_f16_e32 v138, 0x38b4, v86
	v_fmac_f16_e32 v53, 0xb8b4, v86
	v_fmamk_f16 v86, v96, 0x3b9c, v71
	v_fmac_f16_e32 v71, 0xbb9c, v96
	v_fmac_f16_e32 v119, 0xb8b4, v76
	;; [unrolled: 1-line block ×12, first 2 shown]
	v_fmamk_f16 v89, v92, 0x3b9c, v81
	v_fmac_f16_e32 v81, 0xbb9c, v92
	v_fmac_f16_e32 v117, 0xb8b4, v88
	;; [unrolled: 1-line block ×3, first 2 shown]
	v_fmamk_f16 v88, v91, 0xbb9c, v17
	v_fmac_f16_e32 v17, 0x3b9c, v91
	v_fmac_f16_e32 v9, 0x34f2, v120
	;; [unrolled: 1-line block ×4, first 2 shown]
	v_fmamk_f16 v103, v90, 0x3b9c, v60
	v_fmac_f16_e32 v60, 0xbb9c, v90
	v_fmac_f16_e32 v84, 0x34f2, v118
	;; [unrolled: 1-line block ×5, first 2 shown]
	v_add_f16_e32 v125, v143, v125
	v_fmac_f16_e32 v94, 0xb8b4, v90
	v_fmac_f16_e32 v19, 0x38b4, v90
	;; [unrolled: 1-line block ×5, first 2 shown]
	v_pk_add_f16 v76, v5, v0
	v_pk_add_f16 v90, v4, v7
	v_pk_add_f16 v4, v4, v7 neg_lo:[0,1] neg_hi:[0,1]
	v_fmac_f16_e32 v119, 0x34f2, v98
	v_fmac_f16_e32 v93, 0x34f2, v121
	v_pk_add_f16 v0, v5, v0 neg_lo:[0,1] neg_hi:[0,1]
	v_fmac_f16_e32 v87, 0x34f2, v128
	v_fmac_f16_e32 v79, 0x34f2, v127
	;; [unrolled: 1-line block ×5, first 2 shown]
	v_pk_add_f16 v5, v6, v1
	v_pk_add_f16 v1, v6, v1 neg_lo:[0,1] neg_hi:[0,1]
	v_mul_f16_e32 v6, 0xb8b4, v2
	v_mul_f16_e32 v7, 0x38b4, v3
	v_fmac_f16_e32 v89, 0x38b4, v91
	v_fmac_f16_e32 v81, 0xb8b4, v91
	v_fmac_f16_e32 v88, 0x38b4, v92
	v_fmac_f16_e32 v17, 0xb8b4, v92
	v_mul_f16_e32 v91, 0xb8b4, v9
	v_mul_f16_e32 v92, 0x38b4, v134
	v_fmac_f16_e32 v103, 0xb8b4, v95
	v_fmac_f16_e32 v60, 0x38b4, v95
	;; [unrolled: 1-line block ×4, first 2 shown]
	v_mul_f16_e32 v95, 0xbb9c, v84
	v_mul_f16_e32 v84, 0xb4f2, v84
	;; [unrolled: 1-line block ×4, first 2 shown]
	v_fmac_f16_e32 v72, 0x34f2, v112
	v_mul_f16_e32 v97, 0xb8b4, v99
	v_mul_f16_e32 v98, 0xba79, v99
	v_fmac_f16_e32 v73, 0x34f2, v100
	v_fmac_f16_e32 v74, 0x34f2, v115
	v_mul_f16_e32 v100, 0xbb9c, v83
	v_mul_f16_e32 v83, 0xb4f2, v83
	v_fmac_f16_e32 v116, 0x34f2, v105
	v_fmac_f16_e32 v137, 0x34f2, v106
	;; [unrolled: 1-line block ×14, first 2 shown]
	v_mul_f16_e32 v99, 0xbb9c, v93
	v_mul_f16_e32 v93, 0x34f2, v93
	;; [unrolled: 1-line block ×12, first 2 shown]
	v_fmac_f16_e32 v6, 0x3a79, v3
	v_fmac_f16_e32 v7, 0x3a79, v2
	v_fmac_f16_e32 v91, 0x3a79, v134
	v_fmac_f16_e32 v92, 0x3a79, v9
	v_fmac_f16_e32 v139, 0x34f2, v110
	v_fmac_f16_e32 v68, 0x34f2, v110
	v_fmac_f16_e32 v140, 0x34f2, v111
	v_fmac_f16_e32 v67, 0x34f2, v111
	v_fmac_f16_e32 v95, 0xb4f2, v75
	v_fmac_f16_e32 v84, 0x3b9c, v75
	v_fmac_f16_e32 v96, 0x34f2, v141
	v_fmac_f16_e32 v8, 0x3b9c, v141
	v_fmac_f16_e32 v97, 0xba79, v72
	v_fmac_f16_e32 v98, 0x38b4, v72
	v_fmac_f16_e32 v65, 0x34f2, v114
	v_fmac_f16_e32 v100, 0xb4f2, v74
	v_fmac_f16_e32 v83, 0x3b9c, v74
	v_fmac_f16_e32 v117, 0x34f2, v114
	v_fmac_f16_e32 v94, 0x34f2, v122
	v_fmac_f16_e32 v19, 0x34f2, v122
	v_fmac_f16_e32 v103, 0x34f2, v123
	v_fmac_f16_e32 v60, 0x34f2, v123
	v_fmac_f16_e32 v89, 0x34f2, v124
	v_fmac_f16_e32 v81, 0x34f2, v124
	v_fmac_f16_e32 v88, 0x34f2, v126
	v_fmac_f16_e32 v17, 0x34f2, v126
	v_fmac_f16_e32 v99, 0x34f2, v129
	v_fmac_f16_e32 v93, 0x3b9c, v129
	v_fmac_f16_e32 v101, 0xba79, v73
	v_fmac_f16_e32 v102, 0x38b4, v73
	v_fmac_f16_e32 v104, 0x3a79, v87
	v_fmac_f16_e32 v105, 0x3a79, v79
	v_fmac_f16_e32 v106, 0x34f2, v86
	v_fmac_f16_e32 v78, 0x3b9c, v86
	v_fmac_f16_e32 v107, 0xb4f2, v71
	v_fmac_f16_e32 v82, 0x3b9c, v71
	v_fmac_f16_e32 v108, 0xba79, v70
	v_fmac_f16_e32 v109, 0x38b4, v70
	v_add_f16_e32 v2, v116, v6
	v_add_f16_e32 v3, v137, v7
	v_add_f16_e32 v9, v135, v91
	v_add_f16_e32 v70, v136, v92
	v_add_f16_e32 v71, v68, v95
	v_add_f16_e32 v72, v67, v84
	v_add_f16_e32 v73, v139, v96
	v_add_f16_e32 v74, v140, v8
	v_add_f16_e32 v75, v66, v97
	v_add_f16_e32 v79, v77, v98
	v_sub_f16_e32 v86, v135, v91
	v_sub_f16_e32 v87, v139, v96
	;; [unrolled: 1-line block ×6, first 2 shown]
	v_add_f16_e32 v95, v65, v100
	v_sub_f16_e32 v65, v65, v100
	v_add_f16_e32 v98, v53, v83
	v_sub_f16_e32 v53, v53, v83
	v_add_nc_u32_e32 v13, 0xf00, v11
	v_mul_lo_u16 v85, v58, 10
	v_sub_f16_e32 v66, v66, v97
	v_sub_f16_e32 v67, v67, v84
	;; [unrolled: 1-line block ×3, first 2 shown]
	v_add_f16_e32 v84, v117, v99
	v_sub_f16_e32 v92, v117, v99
	v_add_f16_e32 v96, v63, v101
	v_sub_f16_e32 v63, v63, v101
	v_sub_f16_e32 v7, v137, v7
	v_add_f16_e32 v97, v138, v93
	v_sub_f16_e32 v93, v138, v93
	v_add_f16_e32 v83, v80, v102
	v_sub_f16_e32 v80, v80, v102
	v_add_f16_e32 v99, v94, v104
	v_sub_f16_e32 v94, v94, v104
	v_add_f16_e32 v100, v103, v106
	v_sub_f16_e32 v101, v103, v106
	v_add_f16_e32 v102, v60, v107
	v_sub_f16_e32 v60, v60, v107
	v_add_f16_e32 v103, v19, v108
	v_sub_f16_e32 v19, v19, v108
	v_add_f16_e32 v104, v89, v105
	v_sub_f16_e32 v89, v89, v105
	v_add_f16_e32 v105, v88, v78
	v_sub_f16_e32 v78, v88, v78
	v_add_f16_e32 v88, v17, v82
	v_sub_f16_e32 v17, v17, v82
	v_add_f16_e32 v82, v81, v109
	v_sub_f16_e32 v81, v81, v109
	v_pack_b32_f16 v2, v2, v3
	v_pack_b32_f16 v3, v9, v70
	;; [unrolled: 1-line block ×8, first 2 shown]
	v_mul_u32_u24_sdwa v62, v56, v10 dst_sel:DWORD dst_unused:UNUSED_PAD src0_sel:WORD_0 src1_sel:DWORD
	v_add_nc_u32_e32 v12, 0xf08, v11
	v_add_nc_u32_e32 v14, 0xf10, v11
	;; [unrolled: 1-line block ×8, first 2 shown]
	v_sub_nc_u16 v61, v55, v85
	v_add_nc_u32_e32 v85, 0x1e20, v11
	v_pack_b32_f16 v66, v66, v77
	v_pack_b32_f16 v67, v68, v67
	;; [unrolled: 1-line block ×16, first 2 shown]
	ds_write2_b32 v13, v76, v2 offset1:1
	ds_write2_b32 v11, v90, v3 offset1:1
	ds_write2_b32 v11, v70, v9 offset0:2 offset1:3
	ds_write2_b32 v11, v71, v4 offset0:4 offset1:5
	ds_write2_b32 v11, v72, v8 offset0:6 offset1:7
	ds_write2_b32 v11, v67, v66 offset0:8 offset1:9
	ds_write2_b32 v12, v73, v68 offset1:1
	ds_write2_b32 v14, v74, v0 offset1:1
	;; [unrolled: 1-line block ×9, first 2 shown]
	v_add_nc_u32_e32 v53, 0x120, v20
	v_lshrrev_b32_e32 v62, 19, v62
	v_or_b32_e32 v60, 0x180, v20
	v_mul_u32_u24_sdwa v130, v59, v54 dst_sel:DWORD dst_unused:UNUSED_PAD src0_sel:BYTE_0 src1_sel:DWORD
	v_mul_u32_u24_sdwa v133, v61, v54 dst_sel:DWORD dst_unused:UNUSED_PAD src0_sel:BYTE_0 src1_sel:DWORD
	v_mul_u32_u24_sdwa v9, v53, v10 dst_sel:DWORD dst_unused:UNUSED_PAD src0_sel:WORD_0 src1_sel:DWORD
	v_mul_lo_u16 v8, v62, 10
	v_mul_u32_u24_sdwa v10, v60, v10 dst_sel:DWORD dst_unused:UNUSED_PAD src0_sel:WORD_0 src1_sel:DWORD
	v_lshlrev_b32_e32 v130, 2, v130
	v_lshlrev_b32_e32 v57, 2, v133
	v_lshrrev_b32_e32 v70, 19, v9
	v_sub_nc_u16 v69, v56, v8
	v_lshrrev_b32_e32 v73, 19, v10
	s_waitcnt lgkmcnt(0)
	s_barrier
	v_mul_lo_u16 v9, v70, 10
	v_mul_u32_u24_sdwa v8, v69, v54 dst_sel:DWORD dst_unused:UNUSED_PAD src0_sel:WORD_0 src1_sel:DWORD
	buffer_gl0_inv
	s_clause 0x1
	global_load_dwordx4 v[0:3], v130, s[12:13]
	global_load_dwordx4 v[4:7], v57, s[12:13]
	v_sub_nc_u16 v71, v53, v9
	v_mul_lo_u16 v9, v73, 10
	v_lshlrev_b32_e32 v63, 2, v8
	v_mov_b32_e32 v77, 0xf0
	v_mov_b32_e32 v76, v21
	v_mul_u32_u24_sdwa v8, v71, v54 dst_sel:DWORD dst_unused:UNUSED_PAD src0_sel:WORD_0 src1_sel:DWORD
	v_sub_nc_u16 v72, v60, v9
	global_load_dwordx4 v[16:19], v63, s[12:13]
	v_mul_u32_u24_sdwa v78, v38, v77 dst_sel:DWORD dst_unused:UNUSED_PAD src0_sel:WORD_0 src1_sel:DWORD
	v_mul_u32_u24_e32 v62, 0xf0, v62
	v_lshlrev_b32_e32 v64, 2, v8
	v_mul_u32_u24_sdwa v12, v72, v54 dst_sel:DWORD dst_unused:UNUSED_PAD src0_sel:WORD_0 src1_sel:DWORD
	v_mul_u32_u24_e32 v70, 0xf0, v70
	v_mul_u32_u24_sdwa v77, v58, v77 dst_sel:DWORD dst_unused:UNUSED_PAD src0_sel:WORD_0 src1_sel:DWORD
	v_mul_u32_u24_e32 v73, 0xf0, v73
	global_load_dwordx4 v[8:11], v64, s[12:13]
	v_lshlrev_b32_e32 v74, 2, v12
	s_clause 0x5
	global_load_dwordx4 v[12:15], v74, s[12:13]
	global_load_dword v68, v130, s[12:13] offset:16
	global_load_dword v67, v57, s[12:13] offset:16
	;; [unrolled: 1-line block ×5, first 2 shown]
	v_subrev_nc_u32_e32 v57, 60, v20
	v_mul_lo_u16 v74, 0x89, v37
	v_cndmask_b32_e64 v63, v57, v20, s0
	v_mov_b32_e32 v57, 2
	v_mul_i32_i24_e32 v75, 5, v63
	v_lshlrev_b32_sdwa v59, v57, v59 dst_sel:DWORD dst_unused:UNUSED_PAD src0_sel:DWORD src1_sel:BYTE_0
	v_lshlrev_b32_sdwa v58, v57, v69 dst_sel:DWORD dst_unused:UNUSED_PAD src0_sel:DWORD src1_sel:WORD_0
	v_lshlrev_b32_sdwa v69, v57, v71 dst_sel:DWORD dst_unused:UNUSED_PAD src0_sel:DWORD src1_sel:WORD_0
	;; [unrolled: 1-line block ×3, first 2 shown]
	v_lshlrev_b64 v[37:38], 2, v[75:76]
	v_add3_u32 v99, 0, v78, v59
	v_lshlrev_b32_sdwa v78, v57, v61 dst_sel:DWORD dst_unused:UNUSED_PAD src0_sel:DWORD src1_sel:BYTE_0
	v_add3_u32 v100, 0, v62, v58
	v_add3_u32 v59, 0, v70, v69
	ds_read2_b32 v[61:62], v33 offset0:128 offset1:224
	ds_read2_b32 v[69:70], v40 offset0:64 offset1:160
	;; [unrolled: 1-line block ×4, first 2 shown]
	v_add3_u32 v58, 0, v73, v79
	v_add3_u32 v73, 0, v77, v78
	ds_read2_b32 v[77:78], v44 offset0:64 offset1:160
	ds_read2_b32 v[79:80], v43 offset1:96
	ds_read2_b32 v[81:82], v45 offset0:128 offset1:224
	ds_read2_b32 v[83:84], v42 offset0:64 offset1:160
	ds_read2_b32 v[85:86], v50 offset1:96
	ds_read2_b32 v[87:88], v47 offset0:64 offset1:160
	ds_read2_b32 v[89:90], v46 offset1:96
	ds_read2_b32 v[91:92], v39 offset1:96
	ds_read2_b32 v[93:94], v51 offset0:64 offset1:160
	ds_read2_b32 v[95:96], v48 offset0:64 offset1:160
	;; [unrolled: 1-line block ×3, first 2 shown]
	s_waitcnt vmcnt(0) lgkmcnt(0)
	s_barrier
	buffer_gl0_inv
	v_lshlrev_b32_e32 v63, 2, v63
	v_lshrrev_b32_e32 v107, 16, v77
	v_lshrrev_b32_e32 v108, 16, v79
	;; [unrolled: 1-line block ×30, first 2 shown]
	v_mul_f16_sdwa v131, v0, v62 dst_sel:DWORD dst_unused:UNUSED_PAD src0_sel:WORD_1 src1_sel:DWORD
	v_mul_f16_sdwa v133, v69, v1 dst_sel:DWORD dst_unused:UNUSED_PAD src0_sel:DWORD src1_sel:WORD_1
	v_mul_f16_sdwa v136, v75, v3 dst_sel:DWORD dst_unused:UNUSED_PAD src0_sel:DWORD src1_sel:WORD_1
	v_mul_f16_sdwa v132, v0, v101 dst_sel:DWORD dst_unused:UNUSED_PAD src0_sel:WORD_1 src1_sel:DWORD
	v_mul_f16_sdwa v135, v72, v2 dst_sel:DWORD dst_unused:UNUSED_PAD src0_sel:DWORD src1_sel:WORD_1
	v_mul_f16_sdwa v137, v103, v2 dst_sel:DWORD dst_unused:UNUSED_PAD src0_sel:DWORD src1_sel:WORD_1
	v_mul_f16_sdwa v138, v104, v3 dst_sel:DWORD dst_unused:UNUSED_PAD src0_sel:DWORD src1_sel:WORD_1
	v_mul_f16_sdwa v139, v105, v5 dst_sel:DWORD dst_unused:UNUSED_PAD src0_sel:DWORD src1_sel:WORD_1
	v_mul_f16_sdwa v134, v102, v1 dst_sel:DWORD dst_unused:UNUSED_PAD src0_sel:DWORD src1_sel:WORD_1
	v_mul_f16_sdwa v140, v70, v5 dst_sel:DWORD dst_unused:UNUSED_PAD src0_sel:DWORD src1_sel:WORD_1
	v_mul_f16_sdwa v141, v106, v7 dst_sel:DWORD dst_unused:UNUSED_PAD src0_sel:DWORD src1_sel:WORD_1
	v_fma_f16 v101, v0, v101, -v131
	v_mul_f16_sdwa v131, v76, v7 dst_sel:DWORD dst_unused:UNUSED_PAD src0_sel:DWORD src1_sel:WORD_1
	v_fma_f16 v102, v102, v1, -v133
	v_mul_f16_sdwa v133, v77, v4 dst_sel:DWORD dst_unused:UNUSED_PAD src0_sel:DWORD src1_sel:WORD_1
	;; [unrolled: 2-line block ×4, first 2 shown]
	v_fmac_f16_e32 v132, v0, v62
	v_fmac_f16_e32 v137, v72, v2
	;; [unrolled: 1-line block ×3, first 2 shown]
	v_mul_f16_sdwa v0, v108, v6 dst_sel:DWORD dst_unused:UNUSED_PAD src0_sel:DWORD src1_sel:WORD_1
	v_mul_f16_sdwa v2, v78, v16 dst_sel:DWORD dst_unused:UNUSED_PAD src0_sel:DWORD src1_sel:WORD_1
	;; [unrolled: 1-line block ×3, first 2 shown]
	v_fmac_f16_e32 v139, v70, v5
	v_mul_f16_sdwa v62, v80, v18 dst_sel:DWORD dst_unused:UNUSED_PAD src0_sel:DWORD src1_sel:WORD_1
	v_mul_f16_sdwa v70, v111, v17 dst_sel:DWORD dst_unused:UNUSED_PAD src0_sel:DWORD src1_sel:WORD_1
	v_fmac_f16_e32 v134, v69, v1
	v_mul_f16_sdwa v1, v109, v16 dst_sel:DWORD dst_unused:UNUSED_PAD src0_sel:DWORD src1_sel:WORD_1
	v_mul_f16_sdwa v69, v81, v17 dst_sel:DWORD dst_unused:UNUSED_PAD src0_sel:DWORD src1_sel:WORD_1
	;; [unrolled: 1-line block ×4, first 2 shown]
	v_fmac_f16_e32 v141, v76, v7
	v_fma_f16 v5, v105, v5, -v140
	v_fma_f16 v7, v106, v7, -v131
	v_mul_f16_sdwa v76, v113, v9 dst_sel:DWORD dst_unused:UNUSED_PAD src0_sel:DWORD src1_sel:WORD_1
	v_fma_f16 v105, v107, v4, -v133
	v_mul_f16_sdwa v106, v82, v9 dst_sel:DWORD dst_unused:UNUSED_PAD src0_sel:DWORD src1_sel:WORD_1
	;; [unrolled: 2-line block ×3, first 2 shown]
	v_fmac_f16_e32 v135, v77, v4
	v_fmac_f16_e32 v0, v79, v6
	v_mul_f16_sdwa v6, v85, v8 dst_sel:DWORD dst_unused:UNUSED_PAD src0_sel:DWORD src1_sel:WORD_1
	v_mul_f16_sdwa v77, v115, v8 dst_sel:DWORD dst_unused:UNUSED_PAD src0_sel:DWORD src1_sel:WORD_1
	;; [unrolled: 1-line block ×3, first 2 shown]
	v_fmac_f16_e32 v3, v80, v18
	v_mul_f16_sdwa v80, v86, v12 dst_sel:DWORD dst_unused:UNUSED_PAD src0_sel:DWORD src1_sel:WORD_1
	v_fma_f16 v2, v109, v16, -v2
	v_fma_f16 v18, v110, v18, -v62
	v_mul_f16_sdwa v62, v119, v14 dst_sel:DWORD dst_unused:UNUSED_PAD src0_sel:DWORD src1_sel:WORD_1
	v_mul_f16_sdwa v109, v88, v14 dst_sel:DWORD dst_unused:UNUSED_PAD src0_sel:DWORD src1_sel:WORD_1
	v_fmac_f16_e32 v70, v81, v17
	v_mul_f16_sdwa v81, v90, v68 dst_sel:DWORD dst_unused:UNUSED_PAD src0_sel:DWORD src1_sel:WORD_1
	v_mul_f16_sdwa v4, v84, v11 dst_sel:DWORD dst_unused:UNUSED_PAD src0_sel:DWORD src1_sel:WORD_1
	v_mul_f16_sdwa v79, v87, v10 dst_sel:DWORD dst_unused:UNUSED_PAD src0_sel:DWORD src1_sel:WORD_1
	v_fmac_f16_e32 v1, v78, v16
	v_mul_f16_sdwa v78, v116, v10 dst_sel:DWORD dst_unused:UNUSED_PAD src0_sel:DWORD src1_sel:WORD_1
	v_mul_f16_sdwa v133, v118, v13 dst_sel:DWORD dst_unused:UNUSED_PAD src0_sel:DWORD src1_sel:WORD_1
	;; [unrolled: 1-line block ×3, first 2 shown]
	v_fma_f16 v69, v111, v17, -v69
	v_fma_f16 v72, v112, v19, -v72
	v_mul_f16_sdwa v110, v89, v15 dst_sel:DWORD dst_unused:UNUSED_PAD src0_sel:DWORD src1_sel:WORD_1
	v_fmac_f16_e32 v75, v83, v19
	v_mul_f16_sdwa v17, v120, v15 dst_sel:DWORD dst_unused:UNUSED_PAD src0_sel:DWORD src1_sel:WORD_1
	v_mul_f16_sdwa v19, v121, v68 dst_sel:DWORD dst_unused:UNUSED_PAD src0_sel:DWORD src1_sel:WORD_1
	;; [unrolled: 1-line block ×3, first 2 shown]
	v_fmac_f16_e32 v76, v82, v9
	v_mul_f16_sdwa v111, v125, v66 dst_sel:DWORD dst_unused:UNUSED_PAD src0_sel:DWORD src1_sel:WORD_1
	v_fmac_f16_e32 v108, v84, v11
	v_mul_f16_sdwa v84, v94, v66 dst_sel:DWORD dst_unused:UNUSED_PAD src0_sel:DWORD src1_sel:WORD_1
	v_mul_f16_sdwa v112, v97, v65 dst_sel:DWORD dst_unused:UNUSED_PAD src0_sel:DWORD src1_sel:WORD_1
	v_fma_f16 v9, v113, v9, -v106
	v_mul_f16_sdwa v106, v126, v65 dst_sel:DWORD dst_unused:UNUSED_PAD src0_sel:DWORD src1_sel:WORD_1
	v_fma_f16 v6, v115, v8, -v6
	v_fmac_f16_e32 v77, v85, v8
	v_fmac_f16_e32 v131, v86, v12
	;; [unrolled: 1-line block ×3, first 2 shown]
	v_fma_f16 v8, v117, v12, -v80
	v_fma_f16 v12, v119, v14, -v109
	;; [unrolled: 1-line block ×4, first 2 shown]
	v_mul_f16_sdwa v11, v127, v64 dst_sel:DWORD dst_unused:UNUSED_PAD src0_sel:DWORD src1_sel:WORD_1
	v_mul_f16_sdwa v113, v98, v64 dst_sel:DWORD dst_unused:UNUSED_PAD src0_sel:DWORD src1_sel:WORD_1
	;; [unrolled: 1-line block ×3, first 2 shown]
	v_fma_f16 v79, v116, v10, -v79
	v_fmac_f16_e32 v78, v87, v10
	v_fmac_f16_e32 v133, v71, v13
	v_fma_f16 v10, v118, v13, -v16
	v_fma_f16 v13, v120, v15, -v110
	v_fmac_f16_e32 v17, v89, v15
	v_fmac_f16_e32 v19, v90, v68
	v_fma_f16 v15, v123, v67, -v83
	v_fmac_f16_e32 v111, v94, v66
	v_fma_f16 v16, v125, v66, -v84
	v_fma_f16 v66, v126, v65, -v112
	v_fmac_f16_e32 v106, v97, v65
	v_add_f16_e32 v65, v91, v134
	v_add_f16_e32 v71, v122, v102
	;; [unrolled: 1-line block ×6, first 2 shown]
	v_fmac_f16_e32 v11, v98, v64
	v_fma_f16 v64, v127, v64, -v113
	v_fmac_f16_e32 v82, v93, v67
	v_add_f16_e32 v67, v134, v138
	v_add_f16_e32 v84, v137, v19
	v_sub_f16_e32 v88, v103, v14
	v_add_f16_e32 v90, v92, v139
	v_add_f16_e32 v94, v135, v0
	;; [unrolled: 1-line block ×4, first 2 shown]
	v_sub_f16_e32 v103, v107, v15
	v_add_f16_e32 v107, v124, v5
	v_sub_f16_e32 v68, v134, v138
	v_sub_f16_e32 v80, v102, v104
	;; [unrolled: 1-line block ×3, first 2 shown]
	v_add_f16_e32 v89, v139, v141
	v_sub_f16_e32 v102, v5, v7
	v_add_f16_e32 v5, v5, v7
	v_sub_f16_e32 v109, v139, v141
	v_add_f16_e32 v112, v61, v133
	v_add_f16_e32 v114, v131, v62
	;; [unrolled: 1-line block ×3, first 2 shown]
	v_sub_f16_e32 v117, v10, v13
	v_add_f16_e32 v119, v96, v76
	v_add_f16_e32 v120, v78, v106
	;; [unrolled: 1-line block ×5, first 2 shown]
	v_sub_f16_e32 v126, v9, v4
	v_add_f16_e32 v127, v70, v75
	v_add_f16_e32 v134, v95, v70
	;; [unrolled: 1-line block ×14, first 2 shown]
	v_fmac_f16_e32 v122, -0.5, v81
	v_add_f16_e32 v81, v128, v10
	v_add_f16_e32 v10, v10, v13
	v_fmac_f16_e32 v101, -0.5, v87
	v_add_f16_e32 v115, v12, v64
	v_add_f16_e32 v93, v0, v82
	v_sub_f16_e32 v0, v0, v82
	v_fmac_f16_e32 v132, -0.5, v84
	v_fmac_f16_e32 v105, -0.5, v97
	v_add_f16_e32 v7, v107, v7
	v_add_f16_e32 v82, v94, v82
	v_fma_f16 v67, -0.5, v67, v91
	v_add_f16_e32 v15, v98, v15
	v_add_f16_e32 v84, v90, v141
	;; [unrolled: 1-line block ×4, first 2 shown]
	v_sub_f16_e32 v62, v62, v11
	v_add_f16_e32 v118, v76, v108
	v_sub_f16_e32 v78, v78, v106
	v_sub_f16_e32 v79, v79, v66
	;; [unrolled: 1-line block ×8, first 2 shown]
	v_fmac_f16_e32 v124, -0.5, v5
	v_fmac_f16_e32 v77, -0.5, v120
	;; [unrolled: 1-line block ×3, first 2 shown]
	v_fma_f16 v5, -0.5, v127, v95
	v_add_f16_e32 v75, v134, v75
	v_add_f16_e32 v72, v136, v72
	v_fmac_f16_e32 v130, -0.5, v137
	v_add_f16_e32 v87, v139, v111
	v_fmac_f16_e32 v1, -0.5, v138
	;; [unrolled: 2-line block ×3, first 2 shown]
	v_add_f16_e32 v83, v119, v108
	v_add_f16_e32 v4, v86, v4
	v_fmac_f16_e32 v129, -0.5, v9
	v_add_f16_e32 v9, v121, v106
	v_add_f16_e32 v66, v125, v66
	;; [unrolled: 1-line block ×4, first 2 shown]
	v_fmac_f16_e32 v128, -0.5, v10
	v_add_f16_e32 v10, v114, v11
	v_add_f16_e32 v11, v116, v64
	v_sub_f16_e32 v12, v12, v64
	v_add_f16_e32 v64, v65, v19
	v_add_f16_e32 v81, v71, v14
	v_fmamk_f16 v86, v85, 0x3aee, v101
	v_fmac_f16_e32 v8, -0.5, v115
	v_fmac_f16_e32 v101, 0xbaee, v85
	v_fmac_f16_e32 v135, -0.5, v93
	v_fmamk_f16 v90, v80, 0xbaee, v67
	v_fmamk_f16 v91, v68, 0x3aee, v122
	v_fmac_f16_e32 v67, 0x3aee, v80
	v_fmac_f16_e32 v122, 0xbaee, v68
	v_sub_f16_e32 v14, v71, v14
	v_fmamk_f16 v68, v0, 0x3aee, v105
	v_add_f16_e32 v71, v84, v82
	v_add_f16_e32 v80, v7, v15
	v_fmac_f16_e32 v92, -0.5, v89
	v_fmamk_f16 v89, v88, 0xbaee, v132
	v_fmac_f16_e32 v132, 0x3aee, v88
	v_sub_f16_e32 v19, v65, v19
	v_fmac_f16_e32 v105, 0xbaee, v0
	v_fmamk_f16 v88, v78, 0x3aee, v6
	v_fmac_f16_e32 v6, 0xbaee, v78
	v_fmamk_f16 v78, v79, 0xbaee, v77
	;; [unrolled: 2-line block ×6, first 2 shown]
	v_fmac_f16_e32 v2, 0xbaee, v3
	v_add_f16_e32 v3, v75, v87
	v_sub_f16_e32 v75, v75, v87
	v_add_f16_e32 v87, v72, v16
	v_sub_f16_e32 v16, v72, v16
	v_fmamk_f16 v72, v76, 0x3aee, v129
	v_fmac_f16_e32 v129, 0xbaee, v76
	v_add_f16_e32 v76, v83, v9
	v_sub_f16_e32 v9, v83, v9
	v_add_f16_e32 v83, v4, v66
	v_sub_f16_e32 v4, v4, v66
	;; [unrolled: 2-line block ×4, first 2 shown]
	v_pack_b32_f16 v13, v64, v81
	v_mul_f16_e32 v64, 0xbaee, v86
	v_mul_f16_e32 v81, 0.5, v86
	v_fmac_f16_e32 v131, -0.5, v113
	v_sub_f16_e32 v82, v84, v82
	v_fmamk_f16 v84, v62, 0x3aee, v8
	v_mul_f16_e32 v86, 0xbaee, v101
	v_mul_f16_e32 v94, -0.5, v101
	v_fmamk_f16 v0, v103, 0xbaee, v135
	v_pack_b32_f16 v71, v71, v80
	v_mul_f16_e32 v80, 0xbaee, v68
	v_mul_f16_e32 v68, 0.5, v68
	v_fmac_f16_e32 v135, 0x3aee, v103
	v_pack_b32_f16 v14, v19, v14
	v_mul_f16_e32 v19, 0xbaee, v105
	v_mul_f16_e32 v95, -0.5, v105
	v_pack_b32_f16 v4, v9, v4
	v_pack_b32_f16 v9, v93, v17
	;; [unrolled: 1-line block ×3, first 2 shown]
	v_mul_f16_e32 v11, 0xbaee, v18
	v_mul_f16_e32 v17, 0.5, v18
	v_mul_f16_e32 v18, 0xbaee, v2
	v_fmac_f16_e32 v96, -0.5, v118
	v_pack_b32_f16 v16, v75, v16
	v_pack_b32_f16 v75, v76, v83
	v_mul_f16_e32 v2, -0.5, v2
	v_mul_f16_e32 v76, 0xbaee, v88
	v_mul_f16_e32 v83, 0.5, v88
	v_fmac_f16_e32 v64, 0.5, v89
	v_fmac_f16_e32 v81, 0x3aee, v89
	v_fmac_f16_e32 v8, 0xbaee, v62
	v_fmamk_f16 v62, v12, 0xbaee, v131
	v_pack_b32_f16 v3, v3, v87
	v_mul_f16_e32 v87, 0xbaee, v84
	v_mul_f16_e32 v84, 0.5, v84
	v_fmac_f16_e32 v86, -0.5, v132
	v_fmac_f16_e32 v94, 0x3aee, v132
	v_mul_f16_e32 v97, 0xbaee, v6
	v_mul_f16_e32 v6, -0.5, v6
	v_fmamk_f16 v65, v102, 0xbaee, v92
	v_fmamk_f16 v85, v109, 0x3aee, v124
	v_fmac_f16_e32 v80, 0.5, v0
	v_fmac_f16_e32 v68, 0x3aee, v0
	v_fmac_f16_e32 v92, 0x3aee, v102
	;; [unrolled: 1-line block ×3, first 2 shown]
	v_fmac_f16_e32 v19, -0.5, v135
	v_fmac_f16_e32 v95, 0x3aee, v135
	v_fmac_f16_e32 v11, 0.5, v70
	v_fmac_f16_e32 v17, 0x3aee, v70
	v_fmac_f16_e32 v18, -0.5, v1
	v_sub_f16_e32 v7, v7, v15
	v_fmac_f16_e32 v131, 0x3aee, v12
	v_fmamk_f16 v12, v126, 0xbaee, v96
	v_fmac_f16_e32 v2, 0x3aee, v1
	v_fmac_f16_e32 v76, 0.5, v78
	v_fmac_f16_e32 v83, 0x3aee, v78
	v_add_f16_e32 v0, v90, v64
	v_add_f16_e32 v1, v91, v81
	v_fmac_f16_e32 v87, 0.5, v62
	v_fmac_f16_e32 v84, 0x3aee, v62
	v_add_f16_e32 v62, v67, v86
	v_add_f16_e32 v70, v122, v94
	v_fmac_f16_e32 v97, -0.5, v77
	v_fmac_f16_e32 v6, 0x3aee, v77
	v_sub_f16_e32 v64, v90, v64
	v_sub_f16_e32 v67, v67, v86
	;; [unrolled: 1-line block ×4, first 2 shown]
	v_add_f16_e32 v86, v65, v80
	v_add_f16_e32 v88, v85, v68
	;; [unrolled: 1-line block ×5, first 2 shown]
	v_sub_f16_e32 v11, v79, v11
	v_add_f16_e32 v79, v5, v18
	v_sub_f16_e32 v5, v5, v18
	v_add_f16_e32 v18, v69, v17
	v_sub_f16_e32 v17, v69, v17
	v_fmac_f16_e32 v61, -0.5, v110
	v_pack_b32_f16 v7, v82, v7
	v_mul_f16_e32 v82, 0xbaee, v8
	v_mul_f16_e32 v8, -0.5, v8
	v_sub_f16_e32 v19, v92, v19
	v_sub_f16_e32 v65, v65, v80
	;; [unrolled: 1-line block ×4, first 2 shown]
	v_add_f16_e32 v69, v130, v2
	v_sub_f16_e32 v2, v130, v2
	v_add_f16_e32 v92, v12, v76
	v_sub_f16_e32 v12, v12, v76
	v_add_f16_e32 v76, v72, v83
	v_pack_b32_f16 v0, v0, v1
	v_pack_b32_f16 v1, v62, v70
	;; [unrolled: 1-line block ×7, first 2 shown]
	v_fmamk_f16 v15, v117, 0xbaee, v61
	v_fmac_f16_e32 v61, 0x3aee, v117
	v_fmac_f16_e32 v96, 0x3aee, v126
	v_fmamk_f16 v66, v133, 0x3aee, v128
	v_fmac_f16_e32 v128, 0xbaee, v133
	v_fmac_f16_e32 v82, -0.5, v131
	v_fmac_f16_e32 v8, 0x3aee, v131
	v_pack_b32_f16 v65, v65, v68
	v_pack_b32_f16 v19, v19, v80
	v_pack_b32_f16 v18, v91, v18
	v_pack_b32_f16 v68, v79, v69
	v_pack_b32_f16 v2, v5, v2
	v_pack_b32_f16 v5, v92, v76
	ds_write2_b32 v99, v13, v0 offset1:10
	ds_write2_b32 v99, v1, v14 offset0:20 offset1:30
	ds_write2_b32 v99, v62, v64 offset0:40 offset1:50
	ds_write2_b32 v73, v71, v67 offset1:10
	ds_write2_b32 v73, v70, v7 offset0:20 offset1:30
	ds_write2_b32 v73, v65, v19 offset0:40 offset1:50
	;; [unrolled: 3-line block ×3, first 2 shown]
	ds_write2_b32 v59, v75, v5 offset1:10
	v_mov_b32_e32 v11, 0x8889
	v_add_f16_e32 v85, v61, v82
	v_sub_f16_e32 v61, v61, v82
	v_add_f16_e32 v82, v96, v97
	v_sub_f16_e32 v72, v72, v83
	v_add_f16_e32 v83, v129, v6
	v_add_f16_e32 v93, v15, v87
	v_sub_f16_e32 v15, v15, v87
	v_add_f16_e32 v87, v66, v84
	v_sub_f16_e32 v66, v66, v84
	v_add_f16_e32 v84, v128, v8
	v_sub_f16_e32 v8, v128, v8
	v_mul_u32_u24_sdwa v0, v56, v11 dst_sel:DWORD dst_unused:UNUSED_PAD src0_sel:WORD_0 src1_sel:DWORD
	v_sub_f16_e32 v90, v96, v97
	v_sub_f16_e32 v6, v129, v6
	v_pack_b32_f16 v17, v82, v83
	v_pack_b32_f16 v2, v61, v8
	v_lshrrev_b32_e32 v61, 21, v0
	v_pack_b32_f16 v12, v12, v72
	v_pack_b32_f16 v6, v90, v6
	ds_write2_b32 v59, v17, v4 offset0:20 offset1:30
	ds_write2_b32 v59, v12, v6 offset0:40 offset1:50
	v_mul_lo_u16 v4, v61, 60
	v_pack_b32_f16 v69, v93, v87
	v_lshrrev_b16 v62, 13, v74
	v_pack_b32_f16 v1, v15, v66
	v_add_co_u32 v66, s0, s12, v37
	v_sub_nc_u16 v65, v56, v4
	v_mul_u32_u24_sdwa v4, v53, v11 dst_sel:DWORD dst_unused:UNUSED_PAD src0_sel:WORD_0 src1_sel:DWORD
	ds_write2_b32 v58, v9, v69 offset1:10
	v_mul_u32_u24_sdwa v9, v60, v11 dst_sel:DWORD dst_unused:UNUSED_PAD src0_sel:WORD_0 src1_sel:DWORD
	v_mul_lo_u16 v3, v62, 60
	v_mul_u32_u24_sdwa v8, v65, v54 dst_sel:DWORD dst_unused:UNUSED_PAD src0_sel:WORD_0 src1_sel:DWORD
	v_lshrrev_b32_e32 v37, 21, v4
	v_add_co_ci_u32_e64 v67, s0, s13, v38, s0
	v_lshrrev_b32_e32 v38, 21, v9
	v_sub_nc_u16 v64, v55, v3
	v_lshlrev_b32_e32 v68, 2, v8
	v_mul_lo_u16 v8, v37, 60
	v_pack_b32_f16 v72, v85, v84
	v_mul_lo_u16 v9, v38, 60
	v_mul_u32_u24_sdwa v5, v64, v54 dst_sel:DWORD dst_unused:UNUSED_PAD src0_sel:BYTE_0 src1_sel:DWORD
	ds_write2_b32 v58, v1, v2 offset0:40 offset1:50
	v_sub_nc_u16 v56, v53, v8
	ds_write2_b32 v58, v72, v10 offset0:20 offset1:30
	v_sub_nc_u16 v55, v60, v9
	v_lshlrev_b32_e32 v58, 2, v5
	s_waitcnt lgkmcnt(0)
	v_mul_u32_u24_sdwa v8, v56, v54 dst_sel:DWORD dst_unused:UNUSED_PAD src0_sel:WORD_0 src1_sel:DWORD
	s_barrier
	v_mul_u32_u24_sdwa v16, v55, v54 dst_sel:DWORD dst_unused:UNUSED_PAD src0_sel:WORD_0 src1_sel:DWORD
	buffer_gl0_inv
	s_clause 0x2
	global_load_dwordx4 v[0:3], v[66:67], off offset:200
	global_load_dwordx4 v[4:7], v58, s[12:13] offset:200
	global_load_dwordx4 v[12:15], v68, s[12:13] offset:200
	v_lshlrev_b32_e32 v69, 2, v8
	v_lshlrev_b32_e32 v60, 2, v16
	v_cmp_lt_u32_e64 s0, 59, v20
	v_mul_u32_u24_e32 v37, 0x5a0, v37
	v_lshlrev_b32_sdwa v56, v57, v56 dst_sel:DWORD dst_unused:UNUSED_PAD src0_sel:DWORD src1_sel:WORD_0
	s_clause 0x6
	global_load_dwordx4 v[8:11], v69, s[12:13] offset:200
	global_load_dwordx4 v[16:19], v60, s[12:13] offset:200
	global_load_dword v59, v[66:67], off offset:216
	global_load_dword v58, v58, s[12:13] offset:216
	global_load_dword v54, v68, s[12:13] offset:216
	global_load_dword v90, v69, s[12:13] offset:216
	global_load_dword v92, v60, s[12:13] offset:216
	v_mov_b32_e32 v66, 0x5a0
	v_cndmask_b32_e64 v67, 0, 0x5a0, s0
	v_mul_u32_u24_e32 v68, 0x5a0, v61
	v_lshlrev_b32_sdwa v69, v57, v65 dst_sel:DWORD dst_unused:UNUSED_PAD src0_sel:DWORD src1_sel:WORD_0
	v_mul_u32_u24_sdwa v62, v62, v66 dst_sel:DWORD dst_unused:UNUSED_PAD src0_sel:WORD_0 src1_sel:DWORD
	v_add3_u32 v91, 0, v67, v63
	v_lshlrev_b32_sdwa v63, v57, v64 dst_sel:DWORD dst_unused:UNUSED_PAD src0_sel:DWORD src1_sel:BYTE_0
	v_add3_u32 v95, 0, v68, v69
	v_add_nc_u32_e32 v93, 0x200, v91
	v_add3_u32 v94, 0, v62, v63
	ds_read2_b32 v[60:61], v33 offset0:128 offset1:224
	ds_read2_b32 v[62:63], v52 offset0:128 offset1:224
	;; [unrolled: 1-line block ×5, first 2 shown]
	ds_read2_b32 v[70:71], v43 offset1:96
	ds_read2_b32 v[72:73], v45 offset0:128 offset1:224
	ds_read2_b32 v[74:75], v42 offset0:64 offset1:160
	ds_read2_b32 v[76:77], v50 offset1:96
	ds_read2_b32 v[78:79], v47 offset0:64 offset1:160
	ds_read2_b32 v[80:81], v46 offset1:96
	ds_read2_b32 v[82:83], v39 offset1:96
	ds_read2_b32 v[84:85], v51 offset0:64 offset1:160
	ds_read2_b32 v[86:87], v48 offset0:64 offset1:160
	;; [unrolled: 1-line block ×3, first 2 shown]
	s_waitcnt vmcnt(0) lgkmcnt(0)
	s_barrier
	v_add_nc_u32_e32 v96, 0x200, v94
	buffer_gl0_inv
	v_lshrrev_b32_e32 v103, 16, v68
	v_lshrrev_b32_e32 v104, 16, v70
	;; [unrolled: 1-line block ×27, first 2 shown]
	v_mul_f16_sdwa v124, v0, v61 dst_sel:DWORD dst_unused:UNUSED_PAD src0_sel:WORD_1 src1_sel:DWORD
	v_mul_f16_sdwa v125, v0, v97 dst_sel:DWORD dst_unused:UNUSED_PAD src0_sel:WORD_1 src1_sel:DWORD
	;; [unrolled: 1-line block ×6, first 2 shown]
	v_mul_f16_sdwa v130, v98, v3 dst_sel:DWORD dst_unused:UNUSED_PAD src0_sel:DWORD src1_sel:WORD_1
	v_mul_f16_sdwa v131, v62, v3 dst_sel:DWORD dst_unused:UNUSED_PAD src0_sel:DWORD src1_sel:WORD_1
	;; [unrolled: 1-line block ×12, first 2 shown]
	v_fma_f16 v97, v0, v97, -v124
	v_mul_f16_sdwa v124, v106, v14 dst_sel:DWORD dst_unused:UNUSED_PAD src0_sel:DWORD src1_sel:WORD_1
	v_fma_f16 v99, v1, v99, -v126
	v_mul_f16_sdwa v126, v71, v14 dst_sel:DWORD dst_unused:UNUSED_PAD src0_sel:DWORD src1_sel:WORD_1
	v_fma_f16 v100, v2, v100, -v128
	v_fma_f16 v98, v98, v3, -v131
	v_fmac_f16_e32 v125, v0, v61
	v_fmac_f16_e32 v127, v1, v64
	;; [unrolled: 1-line block ×4, first 2 shown]
	v_mul_f16_sdwa v0, v74, v15 dst_sel:DWORD dst_unused:UNUSED_PAD src0_sel:DWORD src1_sel:WORD_1
	v_mul_f16_sdwa v2, v109, v9 dst_sel:DWORD dst_unused:UNUSED_PAD src0_sel:DWORD src1_sel:WORD_1
	;; [unrolled: 1-line block ×3, first 2 shown]
	v_fmac_f16_e32 v132, v65, v5
	v_mul_f16_sdwa v61, v110, v11 dst_sel:DWORD dst_unused:UNUSED_PAD src0_sel:DWORD src1_sel:WORD_1
	v_mul_f16_sdwa v62, v75, v11 dst_sel:DWORD dst_unused:UNUSED_PAD src0_sel:DWORD src1_sel:WORD_1
	v_fmac_f16_e32 v134, v63, v7
	v_mul_f16_sdwa v63, v76, v8 dst_sel:DWORD dst_unused:UNUSED_PAD src0_sel:DWORD src1_sel:WORD_1
	v_mul_f16_sdwa v64, v111, v8 dst_sel:DWORD dst_unused:UNUSED_PAD src0_sel:DWORD src1_sel:WORD_1
	v_fma_f16 v5, v101, v5, -v133
	v_fma_f16 v7, v102, v7, -v135
	;; [unrolled: 1-line block ×3, first 2 shown]
	v_mul_f16_sdwa v102, v113, v16 dst_sel:DWORD dst_unused:UNUSED_PAD src0_sel:DWORD src1_sel:WORD_1
	v_fma_f16 v103, v104, v6, -v138
	v_mul_f16_sdwa v104, v77, v16 dst_sel:DWORD dst_unused:UNUSED_PAD src0_sel:DWORD src1_sel:WORD_1
	v_mul_f16_sdwa v135, v81, v59 dst_sel:DWORD dst_unused:UNUSED_PAD src0_sel:DWORD src1_sel:WORD_1
	v_fmac_f16_e32 v137, v68, v4
	v_fmac_f16_e32 v139, v70, v6
	v_mul_f16_sdwa v4, v114, v17 dst_sel:DWORD dst_unused:UNUSED_PAD src0_sel:DWORD src1_sel:WORD_1
	v_mul_f16_sdwa v6, v66, v17 dst_sel:DWORD dst_unused:UNUSED_PAD src0_sel:DWORD src1_sel:WORD_1
	v_fmac_f16_e32 v140, v69, v12
	v_fmac_f16_e32 v124, v71, v14
	v_mul_f16_sdwa v71, v117, v59 dst_sel:DWORD dst_unused:UNUSED_PAD src0_sel:DWORD src1_sel:WORD_1
	v_fma_f16 v12, v105, v12, -v141
	v_mul_f16_sdwa v105, v84, v58 dst_sel:DWORD dst_unused:UNUSED_PAD src0_sel:DWORD src1_sel:WORD_1
	v_mul_f16_sdwa v128, v72, v13 dst_sel:DWORD dst_unused:UNUSED_PAD src0_sel:DWORD src1_sel:WORD_1
	;; [unrolled: 1-line block ×8, first 2 shown]
	v_fma_f16 v14, v106, v14, -v126
	v_mul_f16_sdwa v126, v121, v54 dst_sel:DWORD dst_unused:UNUSED_PAD src0_sel:DWORD src1_sel:WORD_1
	v_fma_f16 v0, v108, v15, -v0
	v_mul_f16_sdwa v108, v85, v54 dst_sel:DWORD dst_unused:UNUSED_PAD src0_sel:DWORD src1_sel:WORD_1
	v_fmac_f16_e32 v2, v73, v9
	v_fmac_f16_e32 v61, v75, v11
	v_fma_f16 v3, v109, v9, -v3
	v_fma_f16 v9, v110, v11, -v62
	;; [unrolled: 1-line block ×3, first 2 shown]
	v_fmac_f16_e32 v64, v76, v8
	v_fmac_f16_e32 v102, v77, v16
	v_fma_f16 v8, v113, v16, -v104
	v_fma_f16 v16, v117, v59, -v135
	v_mul_f16_sdwa v69, v80, v19 dst_sel:DWORD dst_unused:UNUSED_PAD src0_sel:DWORD src1_sel:WORD_1
	v_mul_f16_sdwa v133, v116, v19 dst_sel:DWORD dst_unused:UNUSED_PAD src0_sel:DWORD src1_sel:WORD_1
	;; [unrolled: 1-line block ×3, first 2 shown]
	v_fmac_f16_e32 v4, v66, v17
	v_fma_f16 v6, v114, v17, -v6
	v_fmac_f16_e32 v71, v81, v59
	v_fma_f16 v17, v119, v58, -v105
	v_fma_f16 v107, v107, v13, -v128
	v_fmac_f16_e32 v131, v72, v13
	v_fma_f16 v13, v112, v10, -v65
	v_fmac_f16_e32 v67, v78, v10
	v_fmac_f16_e32 v68, v79, v18
	v_fma_f16 v10, v115, v18, -v70
	v_fmac_f16_e32 v126, v85, v54
	v_fma_f16 v18, v121, v54, -v108
	v_add_f16_e32 v72, v100, v16
	v_fmac_f16_e32 v1, v74, v15
	v_fma_f16 v15, v116, v19, -v69
	v_fmac_f16_e32 v133, v80, v19
	v_add_f16_e32 v19, v82, v127
	v_add_f16_e32 v59, v118, v99
	;; [unrolled: 1-line block ×4, first 2 shown]
	v_fmac_f16_e32 v106, v84, v58
	v_add_f16_e32 v63, v99, v98
	v_add_f16_e32 v66, v129, v71
	;; [unrolled: 1-line block ×7, first 2 shown]
	v_sub_f16_e32 v69, v129, v71
	v_sub_f16_e32 v73, v100, v16
	v_add_f16_e32 v74, v132, v134
	v_sub_f16_e32 v80, v5, v7
	v_add_f16_e32 v5, v5, v7
	v_add_f16_e32 v100, v86, v131
	;; [unrolled: 1-line block ×7, first 2 shown]
	v_fmac_f16_e32 v97, -0.5, v72
	v_add_f16_e32 v19, v19, v130
	v_add_f16_e32 v59, v59, v98
	;; [unrolled: 1-line block ×6, first 2 shown]
	v_sub_f16_e32 v81, v139, v106
	v_sub_f16_e32 v84, v103, v17
	v_fmac_f16_e32 v118, -0.5, v63
	v_fmac_f16_e32 v125, -0.5, v66
	;; [unrolled: 1-line block ×3, first 2 shown]
	v_add_f16_e32 v7, v85, v7
	v_add_f16_e32 v63, v77, v106
	;; [unrolled: 1-line block ×5, first 2 shown]
	v_sub_f16_e32 v104, v131, v1
	v_sub_f16_e32 v108, v107, v0
	v_add_f16_e32 v107, v107, v0
	v_sub_f16_e32 v111, v124, v126
	v_sub_f16_e32 v14, v14, v18
	v_fmac_f16_e32 v83, -0.5, v74
	v_fmac_f16_e32 v120, -0.5, v5
	v_add_f16_e32 v1, v100, v1
	v_add_f16_e32 v0, v105, v0
	v_add_f16_e32 v5, v109, v126
	v_add_f16_e32 v18, v112, v18
	v_fmac_f16_e32 v140, -0.5, v110
	v_fmac_f16_e32 v12, -0.5, v113
	v_fmamk_f16 v74, v69, 0x3aee, v97
	v_add_f16_e32 v71, v19, v65
	v_add_f16_e32 v72, v59, v16
	v_fmac_f16_e32 v97, 0xbaee, v69
	v_sub_f16_e32 v62, v99, v98
	v_fma_f16 v54, -0.5, v54, v82
	v_fmac_f16_e32 v137, -0.5, v76
	v_sub_f16_e32 v19, v19, v65
	v_sub_f16_e32 v16, v59, v16
	v_fmamk_f16 v59, v81, 0x3aee, v101
	v_add_f16_e32 v65, v66, v63
	v_add_f16_e32 v69, v7, v17
	v_fmac_f16_e32 v101, 0xbaee, v81
	v_sub_f16_e32 v58, v127, v130
	v_fmamk_f16 v75, v73, 0xbaee, v125
	v_sub_f16_e32 v63, v66, v63
	v_sub_f16_e32 v7, v7, v17
	v_add_f16_e32 v17, v1, v5
	v_add_f16_e32 v66, v0, v18
	v_fmamk_f16 v78, v111, 0x3aee, v12
	v_fmamk_f16 v79, v14, 0xbaee, v140
	v_fmac_f16_e32 v12, 0xbaee, v111
	v_fmac_f16_e32 v140, 0x3aee, v14
	v_sub_f16_e32 v0, v0, v18
	v_mul_f16_e32 v14, 0xbaee, v74
	v_mul_f16_e32 v18, 0.5, v74
	v_fmac_f16_e32 v125, 0x3aee, v73
	v_sub_f16_e32 v1, v1, v5
	v_pack_b32_f16 v5, v71, v72
	v_mul_f16_e32 v71, 0xbaee, v97
	v_mul_f16_e32 v72, -0.5, v97
	v_sub_f16_e32 v99, v132, v134
	v_fmamk_f16 v76, v62, 0xbaee, v54
	v_fmac_f16_e32 v54, 0x3aee, v62
	v_fmamk_f16 v62, v84, 0xbaee, v137
	v_pack_b32_f16 v65, v65, v69
	v_mul_f16_e32 v69, 0xbaee, v59
	v_mul_f16_e32 v59, 0.5, v59
	v_fmac_f16_e32 v137, 0x3aee, v84
	v_pack_b32_f16 v16, v19, v16
	v_mul_f16_e32 v19, 0xbaee, v101
	v_mul_f16_e32 v74, -0.5, v101
	v_fmac_f16_e32 v122, -0.5, v107
	v_fma_f16 v70, -0.5, v103, v86
	v_fmamk_f16 v77, v58, 0x3aee, v118
	v_pack_b32_f16 v7, v63, v7
	v_pack_b32_f16 v17, v17, v66
	v_mul_f16_e32 v63, 0xbaee, v78
	v_mul_f16_e32 v66, 0.5, v78
	v_mul_f16_e32 v78, 0xbaee, v12
	v_mul_f16_e32 v12, -0.5, v12
	v_fmac_f16_e32 v14, 0.5, v75
	v_fmac_f16_e32 v18, 0x3aee, v75
	v_fmac_f16_e32 v118, 0xbaee, v58
	v_fmac_f16_e32 v71, -0.5, v125
	v_fmac_f16_e32 v72, 0x3aee, v125
	v_fmamk_f16 v58, v80, 0xbaee, v83
	v_fmamk_f16 v73, v99, 0x3aee, v120
	v_fmac_f16_e32 v69, 0.5, v62
	v_fmac_f16_e32 v59, 0x3aee, v62
	v_fmac_f16_e32 v83, 0x3aee, v80
	;; [unrolled: 1-line block ×3, first 2 shown]
	v_fmac_f16_e32 v19, -0.5, v137
	v_fmac_f16_e32 v74, 0x3aee, v137
	v_fmamk_f16 v80, v108, 0xbaee, v70
	v_fmamk_f16 v81, v104, 0x3aee, v122
	v_fmac_f16_e32 v70, 0x3aee, v108
	v_fmac_f16_e32 v122, 0xbaee, v104
	v_pack_b32_f16 v0, v1, v0
	v_fmac_f16_e32 v63, 0.5, v79
	v_fmac_f16_e32 v66, 0x3aee, v79
	v_fmac_f16_e32 v78, -0.5, v140
	v_fmac_f16_e32 v12, 0x3aee, v140
	v_add_f16_e32 v1, v76, v14
	v_add_f16_e32 v62, v77, v18
	;; [unrolled: 1-line block ×4, first 2 shown]
	v_sub_f16_e32 v14, v76, v14
	v_sub_f16_e32 v54, v54, v71
	;; [unrolled: 1-line block ×4, first 2 shown]
	v_add_f16_e32 v76, v58, v69
	v_add_f16_e32 v77, v73, v59
	;; [unrolled: 1-line block ×4, first 2 shown]
	v_sub_f16_e32 v19, v83, v19
	v_sub_f16_e32 v58, v58, v69
	;; [unrolled: 1-line block ×4, first 2 shown]
	v_add_f16_e32 v73, v80, v63
	v_add_f16_e32 v74, v81, v66
	;; [unrolled: 1-line block ×4, first 2 shown]
	v_pack_b32_f16 v1, v1, v62
	v_pack_b32_f16 v62, v75, v79
	;; [unrolled: 1-line block ×6, first 2 shown]
	v_sub_f16_e32 v63, v80, v63
	v_sub_f16_e32 v70, v70, v78
	;; [unrolled: 1-line block ×4, first 2 shown]
	v_pack_b32_f16 v58, v58, v59
	v_pack_b32_f16 v19, v19, v69
	;; [unrolled: 1-line block ×4, first 2 shown]
	ds_write2_b32 v91, v5, v1 offset1:60
	ds_write2_b32 v91, v62, v16 offset0:120 offset1:180
	ds_write2_b32 v93, v14, v18 offset0:112 offset1:172
	ds_write2_b32 v94, v65, v54 offset1:60
	ds_write2_b32 v94, v71, v7 offset0:120 offset1:180
	ds_write2_b32 v96, v58, v19 offset0:112 offset1:172
	ds_write2_b32 v95, v17, v59 offset1:60
	v_mul_f16_sdwa v1, v88, v90 dst_sel:DWORD dst_unused:UNUSED_PAD src0_sel:DWORD src1_sel:WORD_1
	v_pack_b32_f16 v63, v63, v66
	v_pack_b32_f16 v12, v70, v12
	v_add_nc_u32_e32 v5, 0x200, v95
	v_mul_f16_sdwa v7, v123, v90 dst_sel:DWORD dst_unused:UNUSED_PAD src0_sel:DWORD src1_sel:WORD_1
	ds_write2_b32 v95, v69, v0 offset0:120 offset1:180
	v_fma_f16 v0, v123, v90, -v1
	v_lshrrev_b32_e32 v14, 16, v89
	ds_write2_b32 v5, v63, v12 offset0:112 offset1:172
	v_fmac_f16_e32 v7, v88, v90
	v_mul_f16_sdwa v5, v89, v92 dst_sel:DWORD dst_unused:UNUSED_PAD src0_sel:DWORD src1_sel:WORD_1
	v_add_f16_e32 v12, v13, v0
	v_add_f16_e32 v16, v2, v61
	;; [unrolled: 1-line block ×4, first 2 shown]
	v_lshrrev_b32_e32 v17, 16, v87
	v_fmac_f16_e32 v11, -0.5, v12
	v_sub_f16_e32 v12, v67, v7
	v_add_f16_e32 v70, v3, v9
	v_mul_f16_sdwa v1, v14, v92 dst_sel:DWORD dst_unused:UNUSED_PAD src0_sel:DWORD src1_sel:WORD_1
	v_add_f16_e32 v54, v87, v2
	v_add_f16_e32 v58, v64, v67
	v_fmac_f16_e32 v64, -0.5, v18
	v_fmamk_f16 v18, v12, 0x3aee, v11
	v_fmac_f16_e32 v11, 0xbaee, v12
	v_fmac_f16_e32 v87, -0.5, v16
	v_sub_f16_e32 v12, v3, v9
	v_fma_f16 v5, v14, v92, -v5
	v_sub_f16_e32 v13, v13, v0
	v_add_f16_e32 v3, v17, v3
	v_fmac_f16_e32 v17, -0.5, v70
	v_sub_f16_e32 v2, v2, v61
	v_fmac_f16_e32 v1, v89, v92
	v_fmamk_f16 v14, v12, 0xbaee, v87
	v_fmac_f16_e32 v87, 0x3aee, v12
	v_add_f16_e32 v12, v10, v5
	v_fmamk_f16 v16, v13, 0xbaee, v64
	v_add_f16_e32 v3, v3, v9
	v_fmamk_f16 v9, v2, 0x3aee, v17
	v_fmac_f16_e32 v17, 0xbaee, v2
	v_mul_f16_e32 v2, 0xbaee, v18
	v_add_f16_e32 v63, v68, v1
	v_add_f16_e32 v65, v8, v10
	v_fmac_f16_e32 v8, -0.5, v12
	v_sub_f16_e32 v12, v68, v1
	v_fmac_f16_e32 v2, 0.5, v16
	v_add_f16_e32 v59, v4, v133
	v_lshrrev_b32_e32 v62, 16, v60
	v_add_f16_e32 v67, v102, v68
	v_fmac_f16_e32 v102, -0.5, v63
	v_sub_f16_e32 v10, v10, v5
	v_fmamk_f16 v63, v12, 0x3aee, v8
	v_fmac_f16_e32 v8, 0xbaee, v12
	v_mul_f16_e32 v18, 0.5, v18
	v_fmac_f16_e32 v64, 0x3aee, v13
	v_mul_f16_e32 v13, 0xbaee, v11
	v_mul_f16_e32 v11, -0.5, v11
	v_add_f16_e32 v0, v19, v0
	v_add_f16_e32 v19, v14, v2
	v_sub_f16_e32 v14, v14, v2
	v_add_f16_e32 v2, v6, v15
	v_add_f16_e32 v66, v60, v4
	v_fmac_f16_e32 v60, -0.5, v59
	v_sub_f16_e32 v12, v6, v15
	v_fmamk_f16 v59, v10, 0xbaee, v102
	v_fmac_f16_e32 v102, 0x3aee, v10
	v_mul_f16_e32 v10, 0xbaee, v8
	v_add_f16_e32 v54, v54, v61
	v_add_f16_e32 v7, v58, v7
	v_fmac_f16_e32 v18, 0x3aee, v16
	v_add_f16_e32 v6, v62, v6
	v_fmac_f16_e32 v13, -0.5, v64
	v_fmac_f16_e32 v11, 0x3aee, v64
	v_fmac_f16_e32 v62, -0.5, v2
	v_sub_f16_e32 v2, v4, v133
	v_fmamk_f16 v69, v12, 0xbaee, v60
	v_fmac_f16_e32 v60, 0x3aee, v12
	v_fmac_f16_e32 v10, -0.5, v102
	v_add_f16_e32 v16, v54, v7
	v_sub_f16_e32 v7, v54, v7
	v_add_f16_e32 v54, v3, v0
	v_sub_f16_e32 v0, v3, v0
	v_add_f16_e32 v3, v9, v18
	v_add_f16_e32 v6, v6, v15
	;; [unrolled: 1-line block ×5, first 2 shown]
	v_fmamk_f16 v15, v2, 0x3aee, v62
	v_fmac_f16_e32 v62, 0xbaee, v2
	v_mul_f16_e32 v2, 0xbaee, v63
	v_mul_f16_e32 v8, -0.5, v8
	v_sub_f16_e32 v12, v87, v13
	v_add_f16_e32 v13, v60, v10
	v_sub_f16_e32 v10, v60, v10
	v_sub_f16_e32 v9, v9, v18
	v_mul_f16_e32 v18, 0.5, v63
	v_add_f16_e32 v60, v6, v5
	v_sub_f16_e32 v5, v6, v5
	v_add3_u32 v6, 0, v37, v56
	v_pack_b32_f16 v16, v16, v54
	v_pack_b32_f16 v3, v19, v3
	;; [unrolled: 1-line block ×4, first 2 shown]
	v_sub_f16_e32 v11, v17, v11
	v_add_f16_e32 v17, v66, v133
	v_add_f16_e32 v1, v67, v1
	v_fmac_f16_e32 v2, 0.5, v59
	v_fmac_f16_e32 v8, 0x3aee, v102
	v_fmac_f16_e32 v18, 0x3aee, v59
	ds_write2_b32 v6, v16, v3 offset1:60
	ds_write2_b32 v6, v4, v0 offset0:120 offset1:180
	v_mul_u32_u24_e32 v0, 0x5a0, v38
	v_lshlrev_b32_sdwa v3, v57, v55 dst_sel:DWORD dst_unused:UNUSED_PAD src0_sel:DWORD src1_sel:WORD_0
	v_add_f16_e32 v58, v17, v1
	v_sub_f16_e32 v1, v17, v1
	v_add_f16_e32 v17, v69, v2
	v_sub_f16_e32 v59, v69, v2
	v_add_nc_u32_e32 v2, 0x2a0, v20
	v_pack_b32_f16 v4, v14, v9
	v_mov_b32_e32 v9, 0x2d83
	v_add_f16_e32 v7, v62, v8
	v_add_f16_e32 v56, v15, v18
	v_sub_f16_e32 v15, v15, v18
	v_sub_f16_e32 v8, v62, v8
	v_add3_u32 v0, 0, v0, v3
	v_pack_b32_f16 v11, v12, v11
	v_mul_u32_u24_sdwa v12, v2, v9 dst_sel:DWORD dst_unused:UNUSED_PAD src0_sel:WORD_0 src1_sel:DWORD
	v_add_nc_u32_e32 v6, 0x200, v6
	v_pack_b32_f16 v7, v13, v7
	v_pack_b32_f16 v1, v1, v5
	;; [unrolled: 1-line block ×6, first 2 shown]
	v_add_nc_u32_e32 v10, 0x200, v0
	v_lshrrev_b32_e32 v12, 22, v12
	ds_write2_b32 v6, v4, v11 offset0:112 offset1:172
	ds_write2_b32 v0, v3, v14 offset1:60
	ds_write2_b32 v0, v7, v1 offset0:120 offset1:180
	ds_write2_b32 v10, v5, v8 offset0:112 offset1:172
	v_add_co_u32 v0, s0, s12, v34
	v_add_co_ci_u32_e64 v1, s0, s13, v35, s0
	v_mul_lo_u16 v3, 0x168, v12
	v_add_co_u32 v6, s0, 0x800, v0
	v_add_co_ci_u32_e64 v7, s0, 0, v1, s0
	v_sub_nc_u16 v5, v2, v3
	v_add_nc_u32_e32 v3, 0xffffffb8, v20
	v_cmp_gt_u32_e64 s0, 0x48, v20
	v_mov_b32_e32 v4, v21
	v_add_nc_u32_e32 v19, 0x540, v20
	v_lshlrev_b32_sdwa v11, v57, v5 dst_sel:DWORD dst_unused:UNUSED_PAD src0_sel:DWORD src1_sel:WORD_0
	v_add_nc_u32_e32 v54, 0x4e0, v20
	v_cndmask_b32_e64 v3, v3, v53, s0
	v_add_nc_u32_e32 v37, 0x420, v20
	v_mul_u32_u24_sdwa v8, v19, v9 dst_sel:DWORD dst_unused:UNUSED_PAD src0_sel:WORD_0 src1_sel:DWORD
	s_waitcnt lgkmcnt(0)
	v_mul_u32_u24_sdwa v10, v54, v9 dst_sel:DWORD dst_unused:UNUSED_PAD src0_sel:WORD_0 src1_sel:DWORD
	v_lshlrev_b64 v[4:5], 2, v[3:4]
	s_barrier
	v_lshrrev_b32_e32 v8, 22, v8
	buffer_gl0_inv
	global_load_dword v38, v[0:1], off offset:1784
	v_lshrrev_b32_e32 v10, 22, v10
	v_add_co_u32 v4, s0, s12, v4
	v_add_co_ci_u32_e64 v5, s0, s13, v5, s0
	v_mul_lo_u16 v8, 0x168, v8
	s_clause 0x3
	global_load_dword v65, v[4:5], off offset:1400
	global_load_dword v66, v[6:7], off offset:216
	;; [unrolled: 1-line block ×4, first 2 shown]
	v_add_nc_u32_e32 v4, 0x3c0, v20
	v_add_nc_u32_e32 v5, 0x360, v20
	v_mul_u32_u24_sdwa v13, v36, v9 dst_sel:DWORD dst_unused:UNUSED_PAD src0_sel:WORD_0 src1_sel:DWORD
	v_mul_u32_u24_sdwa v14, v37, v9 dst_sel:DWORD dst_unused:UNUSED_PAD src0_sel:WORD_0 src1_sel:DWORD
	v_sub_nc_u16 v8, v19, v8
	v_mul_u32_u24_sdwa v15, v4, v9 dst_sel:DWORD dst_unused:UNUSED_PAD src0_sel:WORD_0 src1_sel:DWORD
	v_mul_lo_u16 v10, 0x168, v10
	v_mul_u32_u24_sdwa v16, v5, v9 dst_sel:DWORD dst_unused:UNUSED_PAD src0_sel:WORD_0 src1_sel:DWORD
	v_mul_u32_u24_sdwa v9, v32, v9 dst_sel:DWORD dst_unused:UNUSED_PAD src0_sel:WORD_0 src1_sel:DWORD
	v_lshrrev_b32_e32 v13, 22, v13
	v_lshrrev_b32_e32 v14, 22, v14
	v_lshlrev_b32_sdwa v69, v57, v8 dst_sel:DWORD dst_unused:UNUSED_PAD src0_sel:DWORD src1_sel:WORD_0
	v_lshrrev_b32_e32 v8, 22, v15
	v_sub_nc_u16 v10, v54, v10
	v_lshrrev_b32_e32 v15, 22, v16
	v_lshrrev_b32_e32 v9, 22, v9
	v_mul_lo_u16 v13, 0x168, v13
	v_mul_lo_u16 v16, 0x168, v14
	;; [unrolled: 1-line block ×3, first 2 shown]
	v_lshlrev_b32_sdwa v70, v57, v10 dst_sel:DWORD dst_unused:UNUSED_PAD src0_sel:DWORD src1_sel:WORD_0
	v_mul_lo_u16 v10, 0x168, v15
	v_mul_lo_u16 v9, 0x168, v9
	v_sub_nc_u16 v13, v36, v13
	v_sub_nc_u16 v15, v37, v16
	;; [unrolled: 1-line block ×5, first 2 shown]
	v_lshlrev_b32_sdwa v13, v57, v13 dst_sel:DWORD dst_unused:UNUSED_PAD src0_sel:DWORD src1_sel:WORD_0
	v_lshlrev_b32_sdwa v9, v57, v15 dst_sel:DWORD dst_unused:UNUSED_PAD src0_sel:DWORD src1_sel:WORD_0
	;; [unrolled: 1-line block ×3, first 2 shown]
	v_add_co_u32 v4, s0, s12, v30
	v_lshlrev_b32_sdwa v15, v57, v5 dst_sel:DWORD dst_unused:UNUSED_PAD src0_sel:DWORD src1_sel:WORD_0
	v_lshlrev_b32_sdwa v8, v57, v8 dst_sel:DWORD dst_unused:UNUSED_PAD src0_sel:DWORD src1_sel:WORD_0
	v_add_co_ci_u32_e64 v5, s0, s13, v31, s0
	s_clause 0x9
	global_load_dword v32, v69, s[12:13] offset:1400
	global_load_dword v71, v70, s[12:13] offset:1400
	;; [unrolled: 1-line block ×8, first 2 shown]
	global_load_dword v78, v[0:1], off offset:1496
	global_load_dword v79, v[4:5], off offset:1400
	v_mul_u32_u24_e32 v12, 0xb40, v12
	v_mul_u32_u24_e32 v14, 0xb40, v14
	v_cmp_lt_u32_e64 s0, 0x47, v20
	v_add_nc_u32_e32 v83, 0, v8
	v_add_nc_u32_e32 v85, 0, v10
	v_add3_u32 v81, 0, v12, v11
	v_add3_u32 v82, 0, v14, v9
	ds_read2_b32 v[8:9], v43 offset1:96
	ds_read2_b32 v[10:11], v52 offset0:128 offset1:224
	v_cndmask_b32_e64 v16, 0, 0xb40, s0
	v_lshlrev_b32_e32 v3, 2, v3
	v_add_nc_u32_e32 v84, 0, v15
	v_add_nc_u32_e32 v86, 0, v13
	;; [unrolled: 1-line block ×3, first 2 shown]
	v_cmp_gt_u32_e64 s0, 48, v20
	v_add3_u32 v3, 0, v16, v3
	ds_read2_b32 v[12:13], v41 offset0:128 offset1:224
	ds_read2_b32 v[14:15], v51 offset0:64 offset1:160
	ds_read2_b32 v[16:17], v46 offset1:96
	ds_read2_b32 v[18:19], v42 offset0:64 offset1:160
	ds_read2_b32 v[30:31], v47 offset0:64 offset1:160
	ds_read2_b32 v[34:35], v49 offset0:64 offset1:160
	ds_read2_b32 v[36:37], v39 offset1:96
	ds_read2_b32 v[53:54], v48 offset0:64 offset1:160
	;; [unrolled: 4-line block ×3, first 2 shown]
	ds_read2_b32 v[63:64], v45 offset0:128 offset1:224
	s_waitcnt vmcnt(0) lgkmcnt(0)
	s_barrier
	buffer_gl0_inv
	v_pk_mul_f16 v87, v38, v8 op_sel:[0,1]
	v_pk_fma_f16 v102, v38, v8, v87 op_sel:[0,0,1] op_sel_hi:[1,1,0]
	v_pk_mul_f16 v100, v30, v65 op_sel:[0,1]
	v_pk_mul_f16 v90, v11, v66 op_sel:[0,1]
	v_pk_mul_f16 v88, v9, v67 op_sel:[0,1]
	v_pk_mul_f16 v89, v10, v68 op_sel:[0,1]
	v_pk_fma_f16 v8, v38, v8, v87 op_sel:[0,0,1] op_sel_hi:[1,0,0] neg_lo:[1,0,0] neg_hi:[1,0,0]
	v_pk_fma_f16 v87, v30, v65, v100 op_sel:[0,0,1] op_sel_hi:[1,1,0]
	v_pk_fma_f16 v30, v30, v65, v100 op_sel:[0,0,1] op_sel_hi:[1,0,0] neg_lo:[0,0,1] neg_hi:[0,0,1]
	v_pk_fma_f16 v38, v9, v67, v88 op_sel:[0,0,1] op_sel_hi:[1,1,0]
	;; [unrolled: 2-line block ×4, first 2 shown]
	v_pk_fma_f16 v11, v11, v66, v90 op_sel:[0,0,1] op_sel_hi:[1,0,0] neg_lo:[0,0,1] neg_hi:[0,0,1]
	v_bfi_b32 v8, 0xffff, v102, v8
	v_bfi_b32 v9, 0xffff, v38, v9
	;; [unrolled: 1-line block ×5, first 2 shown]
	v_pk_add_f16 v8, v37, v8 neg_lo:[0,1] neg_hi:[0,1]
	v_pk_add_f16 v9, v53, v9 neg_lo:[0,1] neg_hi:[0,1]
	;; [unrolled: 1-line block ×5, first 2 shown]
	ds_write2_b32 v80, v8, v9 offset0:72 offset1:168
	v_pk_fma_f16 v8, v37, 2.0, v8 op_sel_hi:[1,0,1] neg_lo:[0,0,1] neg_hi:[0,0,1]
	v_pk_fma_f16 v9, v53, 2.0, v9 op_sel_hi:[1,0,1] neg_lo:[0,0,1] neg_hi:[0,0,1]
	;; [unrolled: 1-line block ×4, first 2 shown]
	v_pk_mul_f16 v91, v13, v32 op_sel:[0,1]
	v_pk_mul_f16 v92, v12, v71 op_sel:[0,1]
	;; [unrolled: 1-line block ×10, first 2 shown]
	v_pk_fma_f16 v66, v13, v32, v91 op_sel:[0,0,1] op_sel_hi:[1,1,0]
	v_pk_fma_f16 v13, v13, v32, v91 op_sel:[0,0,1] op_sel_hi:[1,0,0] neg_lo:[0,0,1] neg_hi:[0,0,1]
	v_pk_fma_f16 v32, v12, v71, v92 op_sel:[0,0,1] op_sel_hi:[1,1,0]
	v_pk_fma_f16 v12, v12, v71, v92 op_sel:[0,0,1] op_sel_hi:[1,0,0] neg_lo:[0,0,1] neg_hi:[0,0,1]
	;; [unrolled: 2-line block ×10, first 2 shown]
	v_bfi_b32 v12, 0xffff, v32, v12
	v_bfi_b32 v18, 0xffff, v76, v18
	;; [unrolled: 1-line block ×7, first 2 shown]
	v_pk_add_f16 v32, v36, v35 neg_lo:[0,1] neg_hi:[0,1]
	v_bfi_b32 v17, 0xffff, v73, v17
	v_bfi_b32 v19, 0xffff, v75, v19
	v_pk_add_f16 v31, v55, v31 neg_lo:[0,1] neg_hi:[0,1]
	v_bfi_b32 v13, 0xffff, v66, v13
	v_pk_fma_f16 v35, v36, 2.0, v32 op_sel_hi:[1,0,1] neg_lo:[0,0,1] neg_hi:[0,0,1]
	v_pk_fma_f16 v36, v54, 2.0, v30 op_sel_hi:[1,0,1] neg_lo:[0,0,1] neg_hi:[0,0,1]
	v_pk_add_f16 v18, v58, v18 neg_lo:[0,1] neg_hi:[0,1]
	v_pk_add_f16 v16, v60, v16 neg_lo:[0,1] neg_hi:[0,1]
	;; [unrolled: 1-line block ×7, first 2 shown]
	v_pk_fma_f16 v37, v55, 2.0, v31 op_sel_hi:[1,0,1] neg_lo:[0,0,1] neg_hi:[0,0,1]
	ds_write2_b32 v39, v35, v8 offset1:96
	ds_write2_b32 v48, v9, v32 offset0:64 offset1:232
	ds_write_b32 v3, v36
	ds_write_b32 v3, v30 offset:1440
	v_add_nc_u32_e32 v30, 0xa00, v39
	v_pk_add_f16 v13, v34, v13 neg_lo:[0,1] neg_hi:[0,1]
	v_add_nc_u32_e32 v8, 0x1200, v39
	v_pk_fma_f16 v32, v58, 2.0, v18 op_sel_hi:[1,0,1] neg_lo:[0,0,1] neg_hi:[0,0,1]
	v_pk_fma_f16 v3, v60, 2.0, v16 op_sel_hi:[1,0,1] neg_lo:[0,0,1] neg_hi:[0,0,1]
	;; [unrolled: 1-line block ×7, first 2 shown]
	v_add_nc_u32_e32 v35, 0, v70
	ds_write2_b32 v30, v37, v38 offset0:104 offset1:200
	ds_write2_b32 v40, v53, v31 offset0:40 offset1:208
	;; [unrolled: 1-line block ×3, first 2 shown]
	ds_write_b32 v81, v32
	ds_write_b32 v81, v18 offset:1440
	ds_write_b32 v83, v9 offset:5760
	;; [unrolled: 1-line block ×7, first 2 shown]
	ds_write_b32 v82, v56
	ds_write_b32 v82, v14 offset:1440
	ds_write_b32 v86, v55 offset:8640
	;; [unrolled: 1-line block ×3, first 2 shown]
	v_subrev_nc_u32_e32 v3, 48, v20
	v_pk_fma_f16 v34, v34, 2.0, v13 op_sel_hi:[1,0,1] neg_lo:[0,0,1] neg_hi:[0,0,1]
	v_add_nc_u32_e32 v36, 0, v69
	ds_write_b32 v35, v54 offset:8640
	ds_write_b32 v35, v12 offset:10080
	;; [unrolled: 1-line block ×3, first 2 shown]
	v_cndmask_b32_e64 v34, v3, v2, s0
	v_mov_b32_e32 v35, v21
	ds_write_b32 v36, v13 offset:10080
	v_add_co_u32 v2, s0, 0x1000, v0
	v_add_co_ci_u32_e64 v3, s0, 0, v1, s0
	v_lshlrev_b64 v[13:14], 2, v[34:35]
	s_waitcnt lgkmcnt(0)
	s_barrier
	buffer_gl0_inv
	s_clause 0x3
	global_load_dword v12, v[2:3], off offset:664
	global_load_dword v10, v[2:3], off offset:1048
	;; [unrolled: 1-line block ×4, first 2 shown]
	v_add_co_u32 v13, s0, s12, v13
	v_add_co_ci_u32_e64 v14, s0, s13, v14, s0
	v_lshlrev_b32_e32 v34, 2, v34
	v_add_co_u32 v13, s0, 0x800, v13
	v_add_co_ci_u32_e64 v14, s0, 0, v14, s0
	v_add_co_u32 v15, s0, 0x800, v4
	v_add_co_ci_u32_e64 v16, s0, 0, v5, s0
	s_clause 0xa
	global_load_dword v30, v[6:7], off offset:1944
	global_load_dword v19, v[2:3], off offset:280
	;; [unrolled: 1-line block ×11, first 2 shown]
	v_cmp_lt_u32_e64 s0, 47, v20
	v_add_nc_u32_e32 v32, 0x1600, v39
	v_cndmask_b32_e64 v35, 0, 0x1680, s0
	v_add_co_u32 v4, s0, 0x1000, v4
	v_add_co_ci_u32_e64 v5, s0, 0, v5, s0
	v_add3_u32 v38, 0, v35, v34
	v_add_co_u32 v34, s0, 0x1800, v0
	v_add_co_ci_u32_e64 v35, s0, 0, v1, s0
	v_add_co_u32 v36, s0, 0x2000, v0
	v_add_co_ci_u32_e64 v37, s0, 0, v1, s0
	;; [unrolled: 2-line block ×4, first 2 shown]
	ds_read2_b32 v[26:27], v52 offset0:128 offset1:224
	ds_read2_b32 v[28:29], v33 offset0:128 offset1:224
	;; [unrolled: 1-line block ×3, first 2 shown]
	ds_read2_b32 v[55:56], v43 offset1:96
	ds_read2_b32 v[59:60], v47 offset0:64 offset1:160
	ds_read2_b32 v[61:62], v39 offset1:96
	ds_read2_b32 v[63:64], v42 offset0:64 offset1:160
	ds_read2_b32 v[65:66], v49 offset0:64 offset1:160
	ds_read2_b32 v[67:68], v46 offset1:96
	ds_read2_b32 v[69:70], v48 offset0:64 offset1:160
	;; [unrolled: 3-line block ×3, first 2 shown]
	ds_read2_b32 v[77:78], v40 offset0:64 offset1:160
	ds_read2_b32 v[79:80], v45 offset0:128 offset1:224
	s_waitcnt vmcnt(0) lgkmcnt(0)
	s_barrier
	buffer_gl0_inv
	v_add_co_u32 v57, s0, 0x1000, v57
	v_add_co_ci_u32_e64 v58, s0, 0, v58, s0
	v_lshrrev_b32_e32 v89, 16, v59
	v_lshrrev_b32_e32 v90, 16, v60
	;; [unrolled: 1-line block ×30, first 2 shown]
	v_mul_f16_sdwa v113, v26, v12 dst_sel:DWORD dst_unused:UNUSED_PAD src0_sel:DWORD src1_sel:WORD_1
	v_mul_f16_sdwa v114, v83, v12 dst_sel:DWORD dst_unused:UNUSED_PAD src0_sel:DWORD src1_sel:WORD_1
	;; [unrolled: 1-line block ×4, first 2 shown]
	v_mul_f16_sdwa v117, v9, v55 dst_sel:DWORD dst_unused:UNUSED_PAD src0_sel:WORD_1 src1_sel:DWORD
	v_mul_f16_sdwa v118, v9, v87 dst_sel:DWORD dst_unused:UNUSED_PAD src0_sel:WORD_1 src1_sel:DWORD
	;; [unrolled: 1-line block ×4, first 2 shown]
	v_mul_f16_sdwa v121, v59, v30 dst_sel:DWORD dst_unused:UNUSED_PAD src0_sel:DWORD src1_sel:WORD_1
	v_mul_f16_sdwa v122, v89, v30 dst_sel:DWORD dst_unused:UNUSED_PAD src0_sel:DWORD src1_sel:WORD_1
	v_mul_f16_sdwa v123, v90, v19 dst_sel:DWORD dst_unused:UNUSED_PAD src0_sel:DWORD src1_sel:WORD_1
	v_mul_f16_sdwa v124, v60, v19 dst_sel:DWORD dst_unused:UNUSED_PAD src0_sel:DWORD src1_sel:WORD_1
	v_mul_f16_sdwa v129, v67, v18 dst_sel:DWORD dst_unused:UNUSED_PAD src0_sel:DWORD src1_sel:WORD_1
	v_mul_f16_sdwa v130, v93, v18 dst_sel:DWORD dst_unused:UNUSED_PAD src0_sel:DWORD src1_sel:WORD_1
	v_mul_f16_sdwa v131, v94, v14 dst_sel:DWORD dst_unused:UNUSED_PAD src0_sel:DWORD src1_sel:WORD_1
	v_mul_f16_sdwa v133, v71, v15 dst_sel:DWORD dst_unused:UNUSED_PAD src0_sel:DWORD src1_sel:WORD_1
	v_mul_f16_sdwa v134, v95, v15 dst_sel:DWORD dst_unused:UNUSED_PAD src0_sel:DWORD src1_sel:WORD_1
	v_mul_f16_sdwa v135, v96, v16 dst_sel:DWORD dst_unused:UNUSED_PAD src0_sel:DWORD src1_sel:WORD_1
	v_mul_f16_sdwa v136, v72, v16 dst_sel:DWORD dst_unused:UNUSED_PAD src0_sel:DWORD src1_sel:WORD_1
	v_mul_f16_sdwa v137, v75, v7 dst_sel:DWORD dst_unused:UNUSED_PAD src0_sel:DWORD src1_sel:WORD_1
	v_mul_f16_sdwa v138, v97, v7 dst_sel:DWORD dst_unused:UNUSED_PAD src0_sel:DWORD src1_sel:WORD_1
	v_mul_f16_sdwa v141, v13, v66 dst_sel:DWORD dst_unused:UNUSED_PAD src0_sel:WORD_1 src1_sel:DWORD
	v_mul_f16_sdwa v142, v13, v103 dst_sel:DWORD dst_unused:UNUSED_PAD src0_sel:WORD_1 src1_sel:DWORD
	v_mul_f16_sdwa v125, v63, v17 dst_sel:DWORD dst_unused:UNUSED_PAD src0_sel:DWORD src1_sel:WORD_1
	v_mul_f16_sdwa v126, v91, v17 dst_sel:DWORD dst_unused:UNUSED_PAD src0_sel:DWORD src1_sel:WORD_1
	;; [unrolled: 1-line block ×7, first 2 shown]
	v_fma_f16 v83, v83, v12, -v113
	v_fmac_f16_e32 v114, v26, v12
	v_fmac_f16_e32 v115, v27, v10
	v_fma_f16 v10, v84, v10, -v116
	v_fma_f16 v12, v9, v87, -v117
	v_fmac_f16_e32 v118, v9, v55
	v_fmac_f16_e32 v119, v11, v56
	v_fma_f16 v9, v11, v88, -v120
	;; [unrolled: 4-line block ×4, first 2 shown]
	v_fmac_f16_e32 v134, v71, v15
	v_fmac_f16_e32 v135, v72, v16
	v_fma_f16 v15, v96, v16, -v136
	v_fma_f16 v16, v97, v7, -v137
	v_fmac_f16_e32 v138, v75, v7
	v_fma_f16 v7, v13, v103, -v141
	v_fmac_f16_e32 v142, v13, v66
	;; [unrolled: 2-line block ×3, first 2 shown]
	v_fmac_f16_e32 v127, v64, v31
	v_fma_f16 v17, v92, v31, -v128
	v_fma_f16 v14, v94, v14, -v132
	v_fmac_f16_e32 v139, v76, v6
	v_fma_f16 v6, v98, v6, -v140
	v_sub_f16_e32 v13, v29, v114
	v_sub_f16_e32 v30, v85, v83
	;; [unrolled: 1-line block ×30, first 2 shown]
	v_pack_b32_f16 v83, v13, v30
	v_pack_b32_f16 v84, v31, v10
	;; [unrolled: 1-line block ×4, first 2 shown]
	v_fma_f16 v56, v69, 2.0, -v56
	v_fma_f16 v69, v70, 2.0, -v59
	;; [unrolled: 1-line block ×4, first 2 shown]
	v_pack_b32_f16 v29, v59, v11
	v_pack_b32_f16 v59, v60, v19
	v_fma_f16 v55, v62, 2.0, -v55
	v_fma_f16 v60, v61, 2.0, -v63
	;; [unrolled: 1-line block ×15, first 2 shown]
	v_pack_b32_f16 v7, v63, v7
	v_fma_f16 v63, v105, 2.0, -v26
	v_pack_b32_f16 v26, v64, v26
	v_fma_f16 v64, v106, 2.0, -v17
	;; [unrolled: 2-line block ×5, first 2 shown]
	v_fma_f16 v73, v79, 2.0, -v72
	v_fma_f16 v74, v80, 2.0, -v75
	;; [unrolled: 1-line block ×3, first 2 shown]
	v_pack_b32_f16 v18, v71, v18
	v_fma_f16 v71, v110, 2.0, -v15
	v_pack_b32_f16 v15, v72, v15
	v_fma_f16 v72, v111, 2.0, -v16
	;; [unrolled: 2-line block ×3, first 2 shown]
	ds_write2_b32 v8, v83, v84 offset0:48 offset1:144
	ds_write2_b32 v50, v87, v88 offset0:48 offset1:144
	;; [unrolled: 1-line block ×3, first 2 shown]
	v_pack_b32_f16 v8, v60, v77
	v_pack_b32_f16 v12, v55, v12
	;; [unrolled: 1-line block ×16, first 2 shown]
	ds_write2_b32 v39, v8, v12 offset1:96
	ds_write2_b32 v48, v9, v11 offset0:64 offset1:160
	ds_write2_b32 v33, v19, v13 offset0:128 offset1:224
	;; [unrolled: 1-line block ×3, first 2 shown]
	ds_write_b32 v38, v28
	ds_write_b32 v38, v26 offset:2880
	ds_write2_b32 v32, v29, v30 offset0:80 offset1:176
	ds_write2_b32 v46, v27, v14 offset1:96
	ds_write2_b32 v43, v31, v53 offset0:144 offset1:240
	ds_write2_b32 v51, v18, v15 offset0:64 offset1:160
	;; [unrolled: 1-line block ×5, first 2 shown]
	s_waitcnt lgkmcnt(0)
	s_barrier
	buffer_gl0_inv
	s_clause 0x2
	global_load_dword v32, v[2:3], off offset:2008
	global_load_dword v38, v[34:35], off offset:344
	;; [unrolled: 1-line block ×3, first 2 shown]
	v_add_co_u32 v2, s0, 0x1000, v81
	v_add_co_ci_u32_e64 v3, s0, 0, v82, s0
	v_add_co_u32 v0, s0, 0x2800, v0
	v_add_co_ci_u32_e64 v1, s0, 0, v1, s0
	s_clause 0xb
	global_load_dword v54, v[34:35], off offset:1112
	global_load_dword v55, v[34:35], off offset:1496
	;; [unrolled: 1-line block ×12, first 2 shown]
	ds_read2_b32 v[0:1], v43 offset1:96
	ds_read2_b32 v[2:3], v47 offset0:64 offset1:160
	ds_read2_b32 v[4:5], v52 offset0:128 offset1:224
	ds_read2_b32 v[6:7], v39 offset1:96
	ds_read2_b32 v[8:9], v42 offset0:64 offset1:160
	ds_read2_b32 v[10:11], v49 offset0:64 offset1:160
	;; [unrolled: 3-line block ×3, first 2 shown]
	ds_read2_b32 v[18:19], v33 offset0:128 offset1:224
	ds_read2_b32 v[26:27], v41 offset0:128 offset1:224
	;; [unrolled: 1-line block ×3, first 2 shown]
	ds_read2_b32 v[30:31], v50 offset1:96
	ds_read2_b32 v[34:35], v40 offset0:64 offset1:160
	ds_read2_b32 v[36:37], v45 offset0:128 offset1:224
	s_waitcnt vmcnt(0) lgkmcnt(0)
	s_barrier
	buffer_gl0_inv
	v_lshrrev_b32_e32 v66, 16, v0
	v_lshrrev_b32_e32 v67, 16, v1
	;; [unrolled: 1-line block ×30, first 2 shown]
	v_mul_f16_sdwa v96, v32, v0 dst_sel:DWORD dst_unused:UNUSED_PAD src0_sel:WORD_1 src1_sel:DWORD
	v_mul_f16_sdwa v97, v32, v66 dst_sel:DWORD dst_unused:UNUSED_PAD src0_sel:WORD_1 src1_sel:DWORD
	;; [unrolled: 1-line block ×4, first 2 shown]
	v_mul_f16_sdwa v100, v2, v53 dst_sel:DWORD dst_unused:UNUSED_PAD src0_sel:DWORD src1_sel:WORD_1
	v_mul_f16_sdwa v101, v68, v53 dst_sel:DWORD dst_unused:UNUSED_PAD src0_sel:DWORD src1_sel:WORD_1
	;; [unrolled: 1-line block ×8, first 2 shown]
	v_mul_f16_sdwa v120, v65, v11 dst_sel:DWORD dst_unused:UNUSED_PAD src0_sel:WORD_1 src1_sel:DWORD
	v_mul_f16_sdwa v121, v65, v78 dst_sel:DWORD dst_unused:UNUSED_PAD src0_sel:WORD_1 src1_sel:DWORD
	v_mul_f16_sdwa v105, v70, v55 dst_sel:DWORD dst_unused:UNUSED_PAD src0_sel:DWORD src1_sel:WORD_1
	v_mul_f16_sdwa v106, v71, v56 dst_sel:DWORD dst_unused:UNUSED_PAD src0_sel:DWORD src1_sel:WORD_1
	;; [unrolled: 1-line block ×16, first 2 shown]
	v_fma_f16 v66, v32, v66, -v96
	v_fmac_f16_e32 v97, v32, v0
	v_fmac_f16_e32 v118, v17, v61
	v_fma_f16 v17, v65, v78, -v120
	v_fmac_f16_e32 v121, v65, v11
	v_fmac_f16_e32 v98, v38, v1
	v_fma_f16 v0, v38, v67, -v99
	v_fma_f16 v1, v68, v53, -v100
	v_fmac_f16_e32 v101, v2, v53
	v_fmac_f16_e32 v102, v3, v54
	v_fma_f16 v2, v69, v54, -v103
	;; [unrolled: 4-line block ×5, first 2 shown]
	v_fma_f16 v13, v76, v64, -v116
	v_fmac_f16_e32 v117, v16, v64
	v_fma_f16 v16, v77, v61, -v119
	v_fma_f16 v11, v79, v62, -v122
	v_fmac_f16_e32 v123, v26, v62
	v_fmac_f16_e32 v124, v27, v63
	v_fma_f16 v26, v80, v63, -v125
	v_sub_f16_e32 v27, v6, v121
	v_sub_f16_e32 v32, v7, v97
	;; [unrolled: 1-line block ×30, first 2 shown]
	v_fma_f16 v6, v6, 2.0, -v27
	v_fma_f16 v7, v7, 2.0, -v32
	;; [unrolled: 1-line block ×3, first 2 shown]
	v_pack_b32_f16 v17, v27, v17
	v_fma_f16 v27, v82, 2.0, -v65
	v_fma_f16 v14, v14, 2.0, -v38
	v_fma_f16 v15, v15, 2.0, -v53
	v_pack_b32_f16 v32, v32, v65
	v_fma_f16 v65, v83, 2.0, -v0
	v_pack_b32_f16 v0, v38, v0
	v_fma_f16 v38, v84, 2.0, -v1
	v_fma_f16 v18, v18, 2.0, -v54
	v_fma_f16 v19, v19, 2.0, -v55
	v_pack_b32_f16 v1, v53, v1
	v_fma_f16 v53, v85, 2.0, -v2
	;; [unrolled: 6-line block ×3, first 2 shown]
	v_pack_b32_f16 v4, v56, v4
	v_fma_f16 v56, v88, 2.0, -v5
	v_fma_f16 v30, v30, 2.0, -v58
	;; [unrolled: 1-line block ×8, first 2 shown]
	v_pack_b32_f16 v5, v57, v5
	v_fma_f16 v57, v89, 2.0, -v8
	v_pack_b32_f16 v8, v58, v8
	v_fma_f16 v58, v90, 2.0, -v9
	;; [unrolled: 2-line block ×7, first 2 shown]
	v_pack_b32_f16 v26, v64, v26
	v_pack_b32_f16 v6, v6, v66
	;; [unrolled: 1-line block ×4, first 2 shown]
	ds_write2_b32 v43, v32, v0 offset1:96
	v_pack_b32_f16 v0, v15, v38
	v_pack_b32_f16 v15, v18, v53
	ds_write2_b32 v47, v1, v2 offset0:64 offset1:160
	v_pack_b32_f16 v1, v19, v54
	v_pack_b32_f16 v2, v28, v55
	ds_write2_b32 v52, v3, v4 offset0:128 offset1:224
	;; [unrolled: 3-line block ×3, first 2 shown]
	v_pack_b32_f16 v5, v31, v58
	v_pack_b32_f16 v8, v34, v59
	ds_write2_b32 v46, v9, v12 offset1:96
	v_pack_b32_f16 v9, v35, v60
	v_pack_b32_f16 v12, v36, v61
	ds_write2_b32 v51, v13, v16 offset0:64 offset1:160
	v_pack_b32_f16 v13, v37, v62
	v_pack_b32_f16 v10, v10, v63
	ds_write2_b32 v41, v11, v26 offset0:128 offset1:224
	ds_write2_b32 v39, v6, v7 offset1:96
	ds_write2_b32 v48, v14, v0 offset0:64 offset1:160
	ds_write2_b32 v33, v15, v1 offset0:128 offset1:224
	;; [unrolled: 1-line block ×3, first 2 shown]
	ds_write2_b32 v50, v4, v5 offset1:96
	ds_write2_b32 v40, v8, v9 offset0:64 offset1:160
	ds_write2_b32 v45, v12, v13 offset0:128 offset1:224
	;; [unrolled: 1-line block ×3, first 2 shown]
	s_waitcnt lgkmcnt(0)
	s_barrier
	buffer_gl0_inv
	s_and_saveexec_b32 s0, vcc_lo
	s_cbranch_execz .LBB0_21
; %bb.20:
	v_mul_lo_u32 v4, s3, v24
	v_mul_lo_u32 v5, s2, v25
	v_mad_u64_u32 v[0:1], null, s2, v24, 0
	v_lshl_add_u32 v16, v20, 2, 0
	v_lshlrev_b64 v[2:3], 2, v[22:23]
	v_add_nc_u32_e32 v6, 0x60, v20
	v_mov_b32_e32 v7, v21
	v_add_nc_u32_e32 v10, 0x120, v20
	ds_read2_b32 v[12:13], v16 offset1:96
	v_add3_u32 v1, v1, v5, v4
	v_lshlrev_b64 v[4:5], 2, v[20:21]
	v_mov_b32_e32 v11, v21
	v_add_nc_u32_e32 v8, 0xc0, v20
	v_mov_b32_e32 v9, v21
	v_lshlrev_b64 v[0:1], 2, v[0:1]
	v_add_co_u32 v14, vcc_lo, s10, v0
	v_add_co_ci_u32_e32 v15, vcc_lo, s11, v1, vcc_lo
	v_lshlrev_b64 v[0:1], 2, v[6:7]
	v_add_co_u32 v17, vcc_lo, v14, v2
	v_add_co_ci_u32_e32 v18, vcc_lo, v15, v3, vcc_lo
	v_add_nc_u32_e32 v6, 0x200, v16
	v_add_co_u32 v2, vcc_lo, v17, v4
	v_add_co_ci_u32_e32 v3, vcc_lo, v18, v5, vcc_lo
	v_lshlrev_b64 v[4:5], 2, v[8:9]
	v_add_nc_u32_e32 v8, 0x180, v20
	v_add_co_u32 v0, vcc_lo, v17, v0
	s_waitcnt lgkmcnt(0)
	global_store_dword v[2:3], v12, off
	v_add_nc_u32_e32 v12, 0x400, v16
	ds_read2_b32 v[2:3], v6 offset0:64 offset1:160
	v_lshlrev_b64 v[6:7], 2, v[10:11]
	v_add_co_ci_u32_e32 v1, vcc_lo, v18, v1, vcc_lo
	ds_read2_b32 v[10:11], v12 offset0:128 offset1:224
	v_add_co_u32 v4, vcc_lo, v17, v4
	v_lshlrev_b64 v[8:9], 2, v[8:9]
	v_add_co_ci_u32_e32 v5, vcc_lo, v18, v5, vcc_lo
	v_add_co_u32 v6, vcc_lo, v17, v6
	v_add_co_ci_u32_e32 v7, vcc_lo, v18, v7, vcc_lo
	v_add_co_u32 v8, vcc_lo, v17, v8
	v_add_co_ci_u32_e32 v9, vcc_lo, v18, v9, vcc_lo
	v_add_nc_u32_e32 v14, 0x1e0, v20
	v_mov_b32_e32 v15, v21
	global_store_dword v[0:1], v13, off
	s_waitcnt lgkmcnt(1)
	global_store_dword v[4:5], v2, off
	global_store_dword v[6:7], v3, off
	s_waitcnt lgkmcnt(0)
	global_store_dword v[8:9], v10, off
	v_add_nc_u32_e32 v6, 0x800, v16
	v_add_nc_u32_e32 v9, 0xc00, v16
	;; [unrolled: 1-line block ×3, first 2 shown]
	v_mov_b32_e32 v3, v21
	v_lshlrev_b64 v[0:1], 2, v[14:15]
	ds_read2_b32 v[6:7], v6 offset0:64 offset1:160
	v_add_nc_u32_e32 v4, 0x2a0, v20
	v_mov_b32_e32 v5, v21
	ds_read2_b32 v[12:13], v9 offset1:96
	v_lshlrev_b64 v[2:3], 2, v[2:3]
	v_add_nc_u32_e32 v8, 0x300, v20
	v_mov_b32_e32 v9, v21
	v_add_co_u32 v0, vcc_lo, v17, v0
	v_lshlrev_b64 v[4:5], 2, v[4:5]
	v_add_co_ci_u32_e32 v1, vcc_lo, v18, v1, vcc_lo
	v_add_co_u32 v2, vcc_lo, v17, v2
	v_lshlrev_b64 v[8:9], 2, v[8:9]
	v_add_co_ci_u32_e32 v3, vcc_lo, v18, v3, vcc_lo
	v_add_co_u32 v4, vcc_lo, v17, v4
	v_add_co_ci_u32_e32 v5, vcc_lo, v18, v5, vcc_lo
	v_add_co_u32 v8, vcc_lo, v17, v8
	v_add_co_ci_u32_e32 v9, vcc_lo, v18, v9, vcc_lo
	v_add_nc_u32_e32 v14, 0x360, v20
	global_store_dword v[0:1], v11, off
	s_waitcnt lgkmcnt(1)
	global_store_dword v[2:3], v6, off
	global_store_dword v[4:5], v7, off
	s_waitcnt lgkmcnt(0)
	global_store_dword v[8:9], v12, off
	v_add_nc_u32_e32 v6, 0xe00, v16
	v_add_nc_u32_e32 v9, 0x1000, v16
	;; [unrolled: 1-line block ×3, first 2 shown]
	v_mov_b32_e32 v3, v21
	v_lshlrev_b64 v[0:1], 2, v[14:15]
	ds_read2_b32 v[6:7], v6 offset0:64 offset1:160
	v_add_nc_u32_e32 v4, 0x420, v20
	v_mov_b32_e32 v5, v21
	ds_read2_b32 v[10:11], v9 offset0:128 offset1:224
	v_lshlrev_b64 v[2:3], 2, v[2:3]
	v_add_nc_u32_e32 v8, 0x480, v20
	v_mov_b32_e32 v9, v21
	v_add_co_u32 v0, vcc_lo, v17, v0
	v_lshlrev_b64 v[4:5], 2, v[4:5]
	v_add_co_ci_u32_e32 v1, vcc_lo, v18, v1, vcc_lo
	v_add_co_u32 v2, vcc_lo, v17, v2
	v_lshlrev_b64 v[8:9], 2, v[8:9]
	v_add_co_ci_u32_e32 v3, vcc_lo, v18, v3, vcc_lo
	v_add_co_u32 v4, vcc_lo, v17, v4
	v_add_co_ci_u32_e32 v5, vcc_lo, v18, v5, vcc_lo
	v_add_co_u32 v8, vcc_lo, v17, v8
	v_add_co_ci_u32_e32 v9, vcc_lo, v18, v9, vcc_lo
	v_add_nc_u32_e32 v14, 0x4e0, v20
	global_store_dword v[0:1], v13, off
	s_waitcnt lgkmcnt(1)
	global_store_dword v[2:3], v6, off
	global_store_dword v[4:5], v7, off
	s_waitcnt lgkmcnt(0)
	global_store_dword v[8:9], v10, off
	v_add_nc_u32_e32 v6, 0x1400, v16
	v_add_nc_u32_e32 v9, 0x1800, v16
	;; [unrolled: 1-line block ×3, first 2 shown]
	v_mov_b32_e32 v3, v21
	v_lshlrev_b64 v[0:1], 2, v[14:15]
	ds_read2_b32 v[6:7], v6 offset0:64 offset1:160
	v_add_nc_u32_e32 v4, 0x5a0, v20
	v_mov_b32_e32 v5, v21
	ds_read2_b32 v[12:13], v9 offset1:96
	v_lshlrev_b64 v[2:3], 2, v[2:3]
	v_add_nc_u32_e32 v8, 0x600, v20
	v_mov_b32_e32 v9, v21
	v_add_co_u32 v0, vcc_lo, v17, v0
	v_lshlrev_b64 v[4:5], 2, v[4:5]
	v_add_co_ci_u32_e32 v1, vcc_lo, v18, v1, vcc_lo
	v_add_co_u32 v2, vcc_lo, v17, v2
	v_lshlrev_b64 v[8:9], 2, v[8:9]
	v_add_co_ci_u32_e32 v3, vcc_lo, v18, v3, vcc_lo
	v_add_co_u32 v4, vcc_lo, v17, v4
	v_add_co_ci_u32_e32 v5, vcc_lo, v18, v5, vcc_lo
	v_add_co_u32 v8, vcc_lo, v17, v8
	v_add_co_ci_u32_e32 v9, vcc_lo, v18, v9, vcc_lo
	v_add_nc_u32_e32 v14, 0x660, v20
	global_store_dword v[0:1], v11, off
	s_waitcnt lgkmcnt(1)
	global_store_dword v[2:3], v6, off
	global_store_dword v[4:5], v7, off
	s_waitcnt lgkmcnt(0)
	global_store_dword v[8:9], v12, off
	v_add_nc_u32_e32 v6, 0x1a00, v16
	v_add_nc_u32_e32 v9, 0x1c00, v16
	;; [unrolled: 1-line block ×3, first 2 shown]
	v_mov_b32_e32 v3, v21
	v_lshlrev_b64 v[0:1], 2, v[14:15]
	ds_read2_b32 v[6:7], v6 offset0:64 offset1:160
	v_add_nc_u32_e32 v4, 0x720, v20
	v_mov_b32_e32 v5, v21
	ds_read2_b32 v[10:11], v9 offset0:128 offset1:224
	v_lshlrev_b64 v[2:3], 2, v[2:3]
	v_add_nc_u32_e32 v8, 0x780, v20
	v_mov_b32_e32 v9, v21
	v_add_co_u32 v0, vcc_lo, v17, v0
	v_lshlrev_b64 v[4:5], 2, v[4:5]
	v_add_co_ci_u32_e32 v1, vcc_lo, v18, v1, vcc_lo
	v_add_co_u32 v2, vcc_lo, v17, v2
	v_lshlrev_b64 v[8:9], 2, v[8:9]
	v_add_co_ci_u32_e32 v3, vcc_lo, v18, v3, vcc_lo
	v_add_co_u32 v4, vcc_lo, v17, v4
	v_add_co_ci_u32_e32 v5, vcc_lo, v18, v5, vcc_lo
	v_add_co_u32 v8, vcc_lo, v17, v8
	v_add_co_ci_u32_e32 v9, vcc_lo, v18, v9, vcc_lo
	v_add_nc_u32_e32 v14, 0x7e0, v20
	global_store_dword v[0:1], v13, off
	s_waitcnt lgkmcnt(1)
	global_store_dword v[2:3], v6, off
	global_store_dword v[4:5], v7, off
	s_waitcnt lgkmcnt(0)
	global_store_dword v[8:9], v10, off
	v_add_nc_u32_e32 v6, 0x2000, v16
	v_add_nc_u32_e32 v9, 0x2400, v16
	;; [unrolled: 1-line block ×3, first 2 shown]
	v_mov_b32_e32 v3, v21
	v_lshlrev_b64 v[0:1], 2, v[14:15]
	ds_read2_b32 v[6:7], v6 offset0:64 offset1:160
	v_add_nc_u32_e32 v4, 0x8a0, v20
	v_mov_b32_e32 v5, v21
	ds_read2_b32 v[12:13], v9 offset1:96
	v_lshlrev_b64 v[2:3], 2, v[2:3]
	v_add_nc_u32_e32 v8, 0x900, v20
	v_mov_b32_e32 v9, v21
	v_add_co_u32 v0, vcc_lo, v17, v0
	v_lshlrev_b64 v[4:5], 2, v[4:5]
	v_add_co_ci_u32_e32 v1, vcc_lo, v18, v1, vcc_lo
	v_add_co_u32 v2, vcc_lo, v17, v2
	v_lshlrev_b64 v[8:9], 2, v[8:9]
	v_add_co_ci_u32_e32 v3, vcc_lo, v18, v3, vcc_lo
	v_add_co_u32 v4, vcc_lo, v17, v4
	v_add_co_ci_u32_e32 v5, vcc_lo, v18, v5, vcc_lo
	v_add_co_u32 v8, vcc_lo, v17, v8
	v_add_co_ci_u32_e32 v9, vcc_lo, v18, v9, vcc_lo
	v_add_nc_u32_e32 v14, 0x960, v20
	global_store_dword v[0:1], v11, off
	s_waitcnt lgkmcnt(1)
	global_store_dword v[2:3], v6, off
	global_store_dword v[4:5], v7, off
	s_waitcnt lgkmcnt(0)
	global_store_dword v[8:9], v12, off
	v_add_nc_u32_e32 v6, 0x2600, v16
	v_add_nc_u32_e32 v2, 0x9c0, v20
	v_mov_b32_e32 v3, v21
	v_add_nc_u32_e32 v10, 0x2800, v16
	v_lshlrev_b64 v[0:1], 2, v[14:15]
	v_add_nc_u32_e32 v4, 0xa20, v20
	v_mov_b32_e32 v5, v21
	ds_read2_b32 v[6:7], v6 offset0:64 offset1:160
	v_lshlrev_b64 v[2:3], 2, v[2:3]
	v_add_nc_u32_e32 v8, 0xa80, v20
	v_mov_b32_e32 v9, v21
	ds_read2_b32 v[10:11], v10 offset0:128 offset1:224
	v_add_co_u32 v0, vcc_lo, v17, v0
	v_lshlrev_b64 v[4:5], 2, v[4:5]
	v_add_nc_u32_e32 v20, 0xae0, v20
	v_add_co_ci_u32_e32 v1, vcc_lo, v18, v1, vcc_lo
	v_add_co_u32 v2, vcc_lo, v17, v2
	v_lshlrev_b64 v[8:9], 2, v[8:9]
	v_add_co_ci_u32_e32 v3, vcc_lo, v18, v3, vcc_lo
	v_add_co_u32 v4, vcc_lo, v17, v4
	v_lshlrev_b64 v[14:15], 2, v[20:21]
	v_add_co_ci_u32_e32 v5, vcc_lo, v18, v5, vcc_lo
	v_add_co_u32 v8, vcc_lo, v17, v8
	v_add_co_ci_u32_e32 v9, vcc_lo, v18, v9, vcc_lo
	v_add_co_u32 v14, vcc_lo, v17, v14
	v_add_co_ci_u32_e32 v15, vcc_lo, v18, v15, vcc_lo
	global_store_dword v[0:1], v13, off
	s_waitcnt lgkmcnt(1)
	global_store_dword v[2:3], v6, off
	global_store_dword v[4:5], v7, off
	s_waitcnt lgkmcnt(0)
	global_store_dword v[8:9], v10, off
	global_store_dword v[14:15], v11, off
.LBB0_21:
	s_endpgm
	.section	.rodata,"a",@progbits
	.p2align	6, 0x0
	.amdhsa_kernel fft_rtc_back_len2880_factors_10_6_6_2_2_2_wgs_96_tpt_96_halfLds_half_op_CI_CI_unitstride_sbrr_C2R_dirReg
		.amdhsa_group_segment_fixed_size 0
		.amdhsa_private_segment_fixed_size 0
		.amdhsa_kernarg_size 104
		.amdhsa_user_sgpr_count 6
		.amdhsa_user_sgpr_private_segment_buffer 1
		.amdhsa_user_sgpr_dispatch_ptr 0
		.amdhsa_user_sgpr_queue_ptr 0
		.amdhsa_user_sgpr_kernarg_segment_ptr 1
		.amdhsa_user_sgpr_dispatch_id 0
		.amdhsa_user_sgpr_flat_scratch_init 0
		.amdhsa_user_sgpr_private_segment_size 0
		.amdhsa_wavefront_size32 1
		.amdhsa_uses_dynamic_stack 0
		.amdhsa_system_sgpr_private_segment_wavefront_offset 0
		.amdhsa_system_sgpr_workgroup_id_x 1
		.amdhsa_system_sgpr_workgroup_id_y 0
		.amdhsa_system_sgpr_workgroup_id_z 0
		.amdhsa_system_sgpr_workgroup_info 0
		.amdhsa_system_vgpr_workitem_id 0
		.amdhsa_next_free_vgpr 155
		.amdhsa_next_free_sgpr 27
		.amdhsa_reserve_vcc 1
		.amdhsa_reserve_flat_scratch 0
		.amdhsa_float_round_mode_32 0
		.amdhsa_float_round_mode_16_64 0
		.amdhsa_float_denorm_mode_32 3
		.amdhsa_float_denorm_mode_16_64 3
		.amdhsa_dx10_clamp 1
		.amdhsa_ieee_mode 1
		.amdhsa_fp16_overflow 0
		.amdhsa_workgroup_processor_mode 1
		.amdhsa_memory_ordered 1
		.amdhsa_forward_progress 0
		.amdhsa_shared_vgpr_count 0
		.amdhsa_exception_fp_ieee_invalid_op 0
		.amdhsa_exception_fp_denorm_src 0
		.amdhsa_exception_fp_ieee_div_zero 0
		.amdhsa_exception_fp_ieee_overflow 0
		.amdhsa_exception_fp_ieee_underflow 0
		.amdhsa_exception_fp_ieee_inexact 0
		.amdhsa_exception_int_div_zero 0
	.end_amdhsa_kernel
	.text
.Lfunc_end0:
	.size	fft_rtc_back_len2880_factors_10_6_6_2_2_2_wgs_96_tpt_96_halfLds_half_op_CI_CI_unitstride_sbrr_C2R_dirReg, .Lfunc_end0-fft_rtc_back_len2880_factors_10_6_6_2_2_2_wgs_96_tpt_96_halfLds_half_op_CI_CI_unitstride_sbrr_C2R_dirReg
                                        ; -- End function
	.section	.AMDGPU.csdata,"",@progbits
; Kernel info:
; codeLenInByte = 21060
; NumSgprs: 29
; NumVgprs: 155
; ScratchSize: 0
; MemoryBound: 0
; FloatMode: 240
; IeeeMode: 1
; LDSByteSize: 0 bytes/workgroup (compile time only)
; SGPRBlocks: 3
; VGPRBlocks: 19
; NumSGPRsForWavesPerEU: 29
; NumVGPRsForWavesPerEU: 155
; Occupancy: 6
; WaveLimiterHint : 1
; COMPUTE_PGM_RSRC2:SCRATCH_EN: 0
; COMPUTE_PGM_RSRC2:USER_SGPR: 6
; COMPUTE_PGM_RSRC2:TRAP_HANDLER: 0
; COMPUTE_PGM_RSRC2:TGID_X_EN: 1
; COMPUTE_PGM_RSRC2:TGID_Y_EN: 0
; COMPUTE_PGM_RSRC2:TGID_Z_EN: 0
; COMPUTE_PGM_RSRC2:TIDIG_COMP_CNT: 0
	.text
	.p2alignl 6, 3214868480
	.fill 48, 4, 3214868480
	.type	__hip_cuid_def7616ce199be41,@object ; @__hip_cuid_def7616ce199be41
	.section	.bss,"aw",@nobits
	.globl	__hip_cuid_def7616ce199be41
__hip_cuid_def7616ce199be41:
	.byte	0                               ; 0x0
	.size	__hip_cuid_def7616ce199be41, 1

	.ident	"AMD clang version 19.0.0git (https://github.com/RadeonOpenCompute/llvm-project roc-6.4.0 25133 c7fe45cf4b819c5991fe208aaa96edf142730f1d)"
	.section	".note.GNU-stack","",@progbits
	.addrsig
	.addrsig_sym __hip_cuid_def7616ce199be41
	.amdgpu_metadata
---
amdhsa.kernels:
  - .args:
      - .actual_access:  read_only
        .address_space:  global
        .offset:         0
        .size:           8
        .value_kind:     global_buffer
      - .offset:         8
        .size:           8
        .value_kind:     by_value
      - .actual_access:  read_only
        .address_space:  global
        .offset:         16
        .size:           8
        .value_kind:     global_buffer
      - .actual_access:  read_only
        .address_space:  global
        .offset:         24
        .size:           8
        .value_kind:     global_buffer
      - .actual_access:  read_only
        .address_space:  global
        .offset:         32
        .size:           8
        .value_kind:     global_buffer
      - .offset:         40
        .size:           8
        .value_kind:     by_value
      - .actual_access:  read_only
        .address_space:  global
        .offset:         48
        .size:           8
        .value_kind:     global_buffer
      - .actual_access:  read_only
        .address_space:  global
        .offset:         56
        .size:           8
        .value_kind:     global_buffer
      - .offset:         64
        .size:           4
        .value_kind:     by_value
      - .actual_access:  read_only
        .address_space:  global
        .offset:         72
        .size:           8
        .value_kind:     global_buffer
      - .actual_access:  read_only
        .address_space:  global
        .offset:         80
        .size:           8
        .value_kind:     global_buffer
      - .actual_access:  read_only
        .address_space:  global
        .offset:         88
        .size:           8
        .value_kind:     global_buffer
      - .actual_access:  write_only
        .address_space:  global
        .offset:         96
        .size:           8
        .value_kind:     global_buffer
    .group_segment_fixed_size: 0
    .kernarg_segment_align: 8
    .kernarg_segment_size: 104
    .language:       OpenCL C
    .language_version:
      - 2
      - 0
    .max_flat_workgroup_size: 96
    .name:           fft_rtc_back_len2880_factors_10_6_6_2_2_2_wgs_96_tpt_96_halfLds_half_op_CI_CI_unitstride_sbrr_C2R_dirReg
    .private_segment_fixed_size: 0
    .sgpr_count:     29
    .sgpr_spill_count: 0
    .symbol:         fft_rtc_back_len2880_factors_10_6_6_2_2_2_wgs_96_tpt_96_halfLds_half_op_CI_CI_unitstride_sbrr_C2R_dirReg.kd
    .uniform_work_group_size: 1
    .uses_dynamic_stack: false
    .vgpr_count:     155
    .vgpr_spill_count: 0
    .wavefront_size: 32
    .workgroup_processor_mode: 1
amdhsa.target:   amdgcn-amd-amdhsa--gfx1030
amdhsa.version:
  - 1
  - 2
...

	.end_amdgpu_metadata
